;; amdgpu-corpus repo=ROCm/rocFFT kind=compiled arch=gfx1201 opt=O3
	.text
	.amdgcn_target "amdgcn-amd-amdhsa--gfx1201"
	.amdhsa_code_object_version 6
	.protected	fft_rtc_back_len3240_factors_3_3_10_6_6_wgs_108_tpt_108_halfLds_dp_op_CI_CI_unitstride_sbrr_C2R_dirReg ; -- Begin function fft_rtc_back_len3240_factors_3_3_10_6_6_wgs_108_tpt_108_halfLds_dp_op_CI_CI_unitstride_sbrr_C2R_dirReg
	.globl	fft_rtc_back_len3240_factors_3_3_10_6_6_wgs_108_tpt_108_halfLds_dp_op_CI_CI_unitstride_sbrr_C2R_dirReg
	.p2align	8
	.type	fft_rtc_back_len3240_factors_3_3_10_6_6_wgs_108_tpt_108_halfLds_dp_op_CI_CI_unitstride_sbrr_C2R_dirReg,@function
fft_rtc_back_len3240_factors_3_3_10_6_6_wgs_108_tpt_108_halfLds_dp_op_CI_CI_unitstride_sbrr_C2R_dirReg: ; @fft_rtc_back_len3240_factors_3_3_10_6_6_wgs_108_tpt_108_halfLds_dp_op_CI_CI_unitstride_sbrr_C2R_dirReg
; %bb.0:
	s_clause 0x2
	s_load_b128 s[8:11], s[0:1], 0x0
	s_load_b128 s[4:7], s[0:1], 0x58
	;; [unrolled: 1-line block ×3, first 2 shown]
	v_mul_u32_u24_e32 v1, 0x25f, v0
	v_mov_b32_e32 v3, 0
	s_delay_alu instid0(VALU_DEP_2) | instskip(NEXT) | instid1(VALU_DEP_1)
	v_lshrrev_b32_e32 v1, 16, v1
	v_add_nc_u32_e32 v5, ttmp9, v1
	v_mov_b32_e32 v1, 0
	v_mov_b32_e32 v2, 0
	;; [unrolled: 1-line block ×3, first 2 shown]
	s_wait_kmcnt 0x0
	v_cmp_lt_u64_e64 s2, s[10:11], 2
	s_delay_alu instid0(VALU_DEP_1)
	s_and_b32 vcc_lo, exec_lo, s2
	s_cbranch_vccnz .LBB0_8
; %bb.1:
	s_load_b64 s[2:3], s[0:1], 0x10
	v_mov_b32_e32 v1, 0
	v_mov_b32_e32 v2, 0
	s_add_nc_u64 s[16:17], s[14:15], 8
	s_add_nc_u64 s[18:19], s[12:13], 8
	s_mov_b64 s[20:21], 1
	s_delay_alu instid0(VALU_DEP_1)
	v_dual_mov_b32 v165, v2 :: v_dual_mov_b32 v164, v1
	s_wait_kmcnt 0x0
	s_add_nc_u64 s[22:23], s[2:3], 8
	s_mov_b32 s3, 0
.LBB0_2:                                ; =>This Inner Loop Header: Depth=1
	s_load_b64 s[24:25], s[22:23], 0x0
                                        ; implicit-def: $vgpr166_vgpr167
	s_mov_b32 s2, exec_lo
	s_wait_kmcnt 0x0
	v_or_b32_e32 v4, s25, v6
	s_delay_alu instid0(VALU_DEP_1)
	v_cmpx_ne_u64_e32 0, v[3:4]
	s_wait_alu 0xfffe
	s_xor_b32 s26, exec_lo, s2
	s_cbranch_execz .LBB0_4
; %bb.3:                                ;   in Loop: Header=BB0_2 Depth=1
	s_cvt_f32_u32 s2, s24
	s_cvt_f32_u32 s27, s25
	s_sub_nc_u64 s[30:31], 0, s[24:25]
	s_wait_alu 0xfffe
	s_delay_alu instid0(SALU_CYCLE_1) | instskip(SKIP_1) | instid1(SALU_CYCLE_2)
	s_fmamk_f32 s2, s27, 0x4f800000, s2
	s_wait_alu 0xfffe
	v_s_rcp_f32 s2, s2
	s_delay_alu instid0(TRANS32_DEP_1) | instskip(SKIP_1) | instid1(SALU_CYCLE_2)
	s_mul_f32 s2, s2, 0x5f7ffffc
	s_wait_alu 0xfffe
	s_mul_f32 s27, s2, 0x2f800000
	s_wait_alu 0xfffe
	s_delay_alu instid0(SALU_CYCLE_2) | instskip(SKIP_1) | instid1(SALU_CYCLE_2)
	s_trunc_f32 s27, s27
	s_wait_alu 0xfffe
	s_fmamk_f32 s2, s27, 0xcf800000, s2
	s_cvt_u32_f32 s29, s27
	s_wait_alu 0xfffe
	s_delay_alu instid0(SALU_CYCLE_1) | instskip(SKIP_1) | instid1(SALU_CYCLE_2)
	s_cvt_u32_f32 s28, s2
	s_wait_alu 0xfffe
	s_mul_u64 s[34:35], s[30:31], s[28:29]
	s_wait_alu 0xfffe
	s_mul_hi_u32 s37, s28, s35
	s_mul_i32 s36, s28, s35
	s_mul_hi_u32 s2, s28, s34
	s_mul_i32 s33, s29, s34
	s_wait_alu 0xfffe
	s_add_nc_u64 s[36:37], s[2:3], s[36:37]
	s_mul_hi_u32 s27, s29, s34
	s_mul_hi_u32 s38, s29, s35
	s_add_co_u32 s2, s36, s33
	s_wait_alu 0xfffe
	s_add_co_ci_u32 s2, s37, s27
	s_mul_i32 s34, s29, s35
	s_add_co_ci_u32 s35, s38, 0
	s_wait_alu 0xfffe
	s_add_nc_u64 s[34:35], s[2:3], s[34:35]
	s_wait_alu 0xfffe
	v_add_co_u32 v4, s2, s28, s34
	s_delay_alu instid0(VALU_DEP_1) | instskip(SKIP_1) | instid1(VALU_DEP_1)
	s_cmp_lg_u32 s2, 0
	s_add_co_ci_u32 s29, s29, s35
	v_readfirstlane_b32 s28, v4
	s_wait_alu 0xfffe
	s_delay_alu instid0(VALU_DEP_1)
	s_mul_u64 s[30:31], s[30:31], s[28:29]
	s_wait_alu 0xfffe
	s_mul_hi_u32 s35, s28, s31
	s_mul_i32 s34, s28, s31
	s_mul_hi_u32 s2, s28, s30
	s_mul_i32 s33, s29, s30
	s_wait_alu 0xfffe
	s_add_nc_u64 s[34:35], s[2:3], s[34:35]
	s_mul_hi_u32 s27, s29, s30
	s_mul_hi_u32 s28, s29, s31
	s_wait_alu 0xfffe
	s_add_co_u32 s2, s34, s33
	s_add_co_ci_u32 s2, s35, s27
	s_mul_i32 s30, s29, s31
	s_add_co_ci_u32 s31, s28, 0
	s_wait_alu 0xfffe
	s_add_nc_u64 s[30:31], s[2:3], s[30:31]
	s_wait_alu 0xfffe
	v_add_co_u32 v4, s2, v4, s30
	s_delay_alu instid0(VALU_DEP_1) | instskip(SKIP_1) | instid1(VALU_DEP_1)
	s_cmp_lg_u32 s2, 0
	s_add_co_ci_u32 s2, s29, s31
	v_mul_hi_u32 v13, v5, v4
	s_wait_alu 0xfffe
	v_mad_co_u64_u32 v[7:8], null, v5, s2, 0
	v_mad_co_u64_u32 v[9:10], null, v6, v4, 0
	;; [unrolled: 1-line block ×3, first 2 shown]
	s_delay_alu instid0(VALU_DEP_3) | instskip(SKIP_1) | instid1(VALU_DEP_4)
	v_add_co_u32 v4, vcc_lo, v13, v7
	s_wait_alu 0xfffd
	v_add_co_ci_u32_e32 v7, vcc_lo, 0, v8, vcc_lo
	s_delay_alu instid0(VALU_DEP_2) | instskip(SKIP_1) | instid1(VALU_DEP_2)
	v_add_co_u32 v4, vcc_lo, v4, v9
	s_wait_alu 0xfffd
	v_add_co_ci_u32_e32 v4, vcc_lo, v7, v10, vcc_lo
	s_wait_alu 0xfffd
	v_add_co_ci_u32_e32 v7, vcc_lo, 0, v12, vcc_lo
	s_delay_alu instid0(VALU_DEP_2) | instskip(SKIP_1) | instid1(VALU_DEP_2)
	v_add_co_u32 v4, vcc_lo, v4, v11
	s_wait_alu 0xfffd
	v_add_co_ci_u32_e32 v9, vcc_lo, 0, v7, vcc_lo
	s_delay_alu instid0(VALU_DEP_2) | instskip(SKIP_1) | instid1(VALU_DEP_3)
	v_mul_lo_u32 v10, s25, v4
	v_mad_co_u64_u32 v[7:8], null, s24, v4, 0
	v_mul_lo_u32 v11, s24, v9
	s_delay_alu instid0(VALU_DEP_2) | instskip(NEXT) | instid1(VALU_DEP_2)
	v_sub_co_u32 v7, vcc_lo, v5, v7
	v_add3_u32 v8, v8, v11, v10
	s_delay_alu instid0(VALU_DEP_1) | instskip(SKIP_1) | instid1(VALU_DEP_1)
	v_sub_nc_u32_e32 v10, v6, v8
	s_wait_alu 0xfffd
	v_subrev_co_ci_u32_e64 v10, s2, s25, v10, vcc_lo
	v_add_co_u32 v11, s2, v4, 2
	s_wait_alu 0xf1ff
	v_add_co_ci_u32_e64 v12, s2, 0, v9, s2
	v_sub_co_u32 v13, s2, v7, s24
	v_sub_co_ci_u32_e32 v8, vcc_lo, v6, v8, vcc_lo
	s_wait_alu 0xf1ff
	v_subrev_co_ci_u32_e64 v10, s2, 0, v10, s2
	s_delay_alu instid0(VALU_DEP_3) | instskip(NEXT) | instid1(VALU_DEP_3)
	v_cmp_le_u32_e32 vcc_lo, s24, v13
	v_cmp_eq_u32_e64 s2, s25, v8
	s_wait_alu 0xfffd
	v_cndmask_b32_e64 v13, 0, -1, vcc_lo
	v_cmp_le_u32_e32 vcc_lo, s25, v10
	s_wait_alu 0xfffd
	v_cndmask_b32_e64 v14, 0, -1, vcc_lo
	v_cmp_le_u32_e32 vcc_lo, s24, v7
	;; [unrolled: 3-line block ×3, first 2 shown]
	s_wait_alu 0xfffd
	v_cndmask_b32_e64 v15, 0, -1, vcc_lo
	v_cmp_eq_u32_e32 vcc_lo, s25, v10
	s_wait_alu 0xf1ff
	s_delay_alu instid0(VALU_DEP_2)
	v_cndmask_b32_e64 v7, v15, v7, s2
	s_wait_alu 0xfffd
	v_cndmask_b32_e32 v10, v14, v13, vcc_lo
	v_add_co_u32 v13, vcc_lo, v4, 1
	s_wait_alu 0xfffd
	v_add_co_ci_u32_e32 v14, vcc_lo, 0, v9, vcc_lo
	s_delay_alu instid0(VALU_DEP_3) | instskip(SKIP_1) | instid1(VALU_DEP_2)
	v_cmp_ne_u32_e32 vcc_lo, 0, v10
	s_wait_alu 0xfffd
	v_cndmask_b32_e32 v8, v14, v12, vcc_lo
	v_cndmask_b32_e32 v10, v13, v11, vcc_lo
	v_cmp_ne_u32_e32 vcc_lo, 0, v7
	s_wait_alu 0xfffd
	s_delay_alu instid0(VALU_DEP_2)
	v_dual_cndmask_b32 v167, v9, v8 :: v_dual_cndmask_b32 v166, v4, v10
.LBB0_4:                                ;   in Loop: Header=BB0_2 Depth=1
	s_wait_alu 0xfffe
	s_and_not1_saveexec_b32 s2, s26
	s_cbranch_execz .LBB0_6
; %bb.5:                                ;   in Loop: Header=BB0_2 Depth=1
	v_cvt_f32_u32_e32 v4, s24
	s_sub_co_i32 s26, 0, s24
	v_mov_b32_e32 v167, v3
	s_delay_alu instid0(VALU_DEP_2) | instskip(NEXT) | instid1(TRANS32_DEP_1)
	v_rcp_iflag_f32_e32 v4, v4
	v_mul_f32_e32 v4, 0x4f7ffffe, v4
	s_delay_alu instid0(VALU_DEP_1) | instskip(SKIP_1) | instid1(VALU_DEP_1)
	v_cvt_u32_f32_e32 v4, v4
	s_wait_alu 0xfffe
	v_mul_lo_u32 v7, s26, v4
	s_delay_alu instid0(VALU_DEP_1) | instskip(NEXT) | instid1(VALU_DEP_1)
	v_mul_hi_u32 v7, v4, v7
	v_add_nc_u32_e32 v4, v4, v7
	s_delay_alu instid0(VALU_DEP_1) | instskip(NEXT) | instid1(VALU_DEP_1)
	v_mul_hi_u32 v4, v5, v4
	v_mul_lo_u32 v7, v4, s24
	v_add_nc_u32_e32 v8, 1, v4
	s_delay_alu instid0(VALU_DEP_2) | instskip(NEXT) | instid1(VALU_DEP_1)
	v_sub_nc_u32_e32 v7, v5, v7
	v_subrev_nc_u32_e32 v9, s24, v7
	v_cmp_le_u32_e32 vcc_lo, s24, v7
	s_wait_alu 0xfffd
	s_delay_alu instid0(VALU_DEP_2) | instskip(NEXT) | instid1(VALU_DEP_1)
	v_dual_cndmask_b32 v7, v7, v9 :: v_dual_cndmask_b32 v4, v4, v8
	v_cmp_le_u32_e32 vcc_lo, s24, v7
	s_delay_alu instid0(VALU_DEP_2) | instskip(SKIP_1) | instid1(VALU_DEP_1)
	v_add_nc_u32_e32 v8, 1, v4
	s_wait_alu 0xfffd
	v_cndmask_b32_e32 v166, v4, v8, vcc_lo
.LBB0_6:                                ;   in Loop: Header=BB0_2 Depth=1
	s_wait_alu 0xfffe
	s_or_b32 exec_lo, exec_lo, s2
	v_mul_lo_u32 v4, v167, s24
	s_delay_alu instid0(VALU_DEP_2)
	v_mul_lo_u32 v9, v166, s25
	s_load_b64 s[26:27], s[18:19], 0x0
	v_mad_co_u64_u32 v[7:8], null, v166, s24, 0
	s_load_b64 s[24:25], s[16:17], 0x0
	s_add_nc_u64 s[20:21], s[20:21], 1
	s_add_nc_u64 s[16:17], s[16:17], 8
	s_wait_alu 0xfffe
	v_cmp_ge_u64_e64 s2, s[20:21], s[10:11]
	s_add_nc_u64 s[18:19], s[18:19], 8
	s_add_nc_u64 s[22:23], s[22:23], 8
	v_add3_u32 v4, v8, v9, v4
	v_sub_co_u32 v5, vcc_lo, v5, v7
	s_wait_alu 0xfffd
	s_delay_alu instid0(VALU_DEP_2) | instskip(SKIP_2) | instid1(VALU_DEP_1)
	v_sub_co_ci_u32_e32 v4, vcc_lo, v6, v4, vcc_lo
	s_and_b32 vcc_lo, exec_lo, s2
	s_wait_kmcnt 0x0
	v_mul_lo_u32 v6, s26, v4
	v_mul_lo_u32 v7, s27, v5
	v_mad_co_u64_u32 v[1:2], null, s26, v5, v[1:2]
	v_mul_lo_u32 v4, s24, v4
	v_mul_lo_u32 v8, s25, v5
	v_mad_co_u64_u32 v[164:165], null, s24, v5, v[164:165]
	s_delay_alu instid0(VALU_DEP_4) | instskip(NEXT) | instid1(VALU_DEP_2)
	v_add3_u32 v2, v7, v2, v6
	v_add3_u32 v165, v8, v165, v4
	s_wait_alu 0xfffe
	s_cbranch_vccnz .LBB0_9
; %bb.7:                                ;   in Loop: Header=BB0_2 Depth=1
	v_dual_mov_b32 v5, v166 :: v_dual_mov_b32 v6, v167
	s_branch .LBB0_2
.LBB0_8:
	v_dual_mov_b32 v165, v2 :: v_dual_mov_b32 v164, v1
	v_dual_mov_b32 v167, v6 :: v_dual_mov_b32 v166, v5
.LBB0_9:
	s_load_b64 s[0:1], s[0:1], 0x28
	v_mul_hi_u32 v3, 0x25ed098, v0
	s_lshl_b64 s[10:11], s[10:11], 3
                                        ; implicit-def: $vgpr162
	s_wait_alu 0xfffe
	s_add_nc_u64 s[2:3], s[14:15], s[10:11]
	s_wait_kmcnt 0x0
	v_cmp_gt_u64_e32 vcc_lo, s[0:1], v[166:167]
	v_cmp_le_u64_e64 s0, s[0:1], v[166:167]
	s_delay_alu instid0(VALU_DEP_1)
	s_and_saveexec_b32 s1, s0
	s_wait_alu 0xfffe
	s_xor_b32 s0, exec_lo, s1
; %bb.10:
	v_mul_u32_u24_e32 v1, 0x6c, v3
                                        ; implicit-def: $vgpr3
	s_delay_alu instid0(VALU_DEP_1)
	v_sub_nc_u32_e32 v162, v0, v1
                                        ; implicit-def: $vgpr0
                                        ; implicit-def: $vgpr1_vgpr2
; %bb.11:
	s_wait_alu 0xfffe
	s_or_saveexec_b32 s1, s0
	s_load_b64 s[2:3], s[2:3], 0x0
	s_xor_b32 exec_lo, exec_lo, s1
	s_cbranch_execz .LBB0_15
; %bb.12:
	s_add_nc_u64 s[10:11], s[12:13], s[10:11]
	v_lshlrev_b64_e32 v[1:2], 4, v[1:2]
	s_load_b64 s[10:11], s[10:11], 0x0
	s_wait_kmcnt 0x0
	v_mul_lo_u32 v6, s11, v166
	v_mul_lo_u32 v7, s10, v167
	v_mad_co_u64_u32 v[4:5], null, s10, v166, 0
	s_delay_alu instid0(VALU_DEP_1) | instskip(SKIP_1) | instid1(VALU_DEP_2)
	v_add3_u32 v5, v5, v7, v6
	v_mul_u32_u24_e32 v6, 0x6c, v3
	v_lshlrev_b64_e32 v[3:4], 4, v[4:5]
	s_delay_alu instid0(VALU_DEP_2) | instskip(NEXT) | instid1(VALU_DEP_1)
	v_sub_nc_u32_e32 v162, v0, v6
	v_lshlrev_b32_e32 v122, 4, v162
	s_delay_alu instid0(VALU_DEP_3) | instskip(SKIP_1) | instid1(VALU_DEP_4)
	v_add_co_u32 v0, s0, s4, v3
	s_wait_alu 0xf1ff
	v_add_co_ci_u32_e64 v3, s0, s5, v4, s0
	s_delay_alu instid0(VALU_DEP_2) | instskip(SKIP_1) | instid1(VALU_DEP_2)
	v_add_co_u32 v0, s0, v0, v1
	s_wait_alu 0xf1ff
	v_add_co_ci_u32_e64 v1, s0, v3, v2, s0
	s_delay_alu instid0(VALU_DEP_2) | instskip(SKIP_1) | instid1(VALU_DEP_2)
	v_add_co_u32 v118, s0, v0, v122
	s_wait_alu 0xf1ff
	v_add_co_ci_u32_e64 v119, s0, 0, v1, s0
	s_clause 0x1d
	global_load_b128 v[2:5], v[118:119], off offset:1728
	global_load_b128 v[6:9], v[118:119], off offset:3456
	;; [unrolled: 1-line block ×28, first 2 shown]
	global_load_b128 v[114:117], v[118:119], off
	global_load_b128 v[118:121], v[118:119], off offset:50112
	v_add_nc_u32_e32 v122, 0, v122
	v_cmp_eq_u32_e64 s0, 0x6b, v162
	s_wait_loadcnt 0x1d
	ds_store_b128 v122, v[2:5] offset:1728
	s_wait_loadcnt 0x1c
	ds_store_b128 v122, v[6:9] offset:3456
	;; [unrolled: 2-line block ×28, first 2 shown]
	s_wait_loadcnt 0x1
	ds_store_b128 v122, v[114:117]
	s_wait_loadcnt 0x0
	ds_store_b128 v122, v[118:121] offset:50112
	s_and_saveexec_b32 s4, s0
	s_cbranch_execz .LBB0_14
; %bb.13:
	global_load_b128 v[0:3], v[0:1], off offset:51840
	v_mov_b32_e32 v4, 0
	v_mov_b32_e32 v162, 0x6b
	s_wait_loadcnt 0x0
	ds_store_b128 v4, v[0:3] offset:51840
.LBB0_14:
	s_wait_alu 0xfffe
	s_or_b32 exec_lo, exec_lo, s4
.LBB0_15:
	s_delay_alu instid0(SALU_CYCLE_1)
	s_or_b32 exec_lo, exec_lo, s1
	v_lshlrev_b32_e32 v0, 4, v162
	global_wb scope:SCOPE_SE
	s_wait_dscnt 0x0
	s_wait_kmcnt 0x0
	s_barrier_signal -1
	s_barrier_wait -1
	global_inv scope:SCOPE_SE
	v_add_nc_u32_e32 v174, 0, v0
	v_sub_nc_u32_e32 v14, 0, v0
	s_mov_b32 s1, exec_lo
                                        ; implicit-def: $vgpr4_vgpr5
	ds_load_b64 v[6:7], v174
	ds_load_b64 v[8:9], v14 offset:51840
	s_wait_dscnt 0x0
	v_add_f64_e32 v[0:1], v[6:7], v[8:9]
	v_add_f64_e64 v[2:3], v[6:7], -v[8:9]
	v_cmpx_ne_u32_e32 0, v162
	s_wait_alu 0xfffe
	s_xor_b32 s1, exec_lo, s1
	s_cbranch_execz .LBB0_17
; %bb.16:
	v_mov_b32_e32 v163, 0
	v_add_f64_e32 v[12:13], v[6:7], v[8:9]
	v_add_f64_e64 v[15:16], v[6:7], -v[8:9]
	s_delay_alu instid0(VALU_DEP_3) | instskip(NEXT) | instid1(VALU_DEP_1)
	v_lshlrev_b64_e32 v[0:1], 4, v[162:163]
	v_add_co_u32 v0, s0, s8, v0
	s_wait_alu 0xf1ff
	s_delay_alu instid0(VALU_DEP_2)
	v_add_co_ci_u32_e64 v1, s0, s9, v1, s0
	global_load_b128 v[2:5], v[0:1], off offset:51792
	ds_load_b64 v[0:1], v14 offset:51848
	ds_load_b64 v[10:11], v174 offset:8
	s_wait_dscnt 0x0
	v_add_f64_e32 v[6:7], v[0:1], v[10:11]
	v_add_f64_e64 v[0:1], v[10:11], -v[0:1]
	s_wait_loadcnt 0x0
	v_fma_f64 v[8:9], v[15:16], v[4:5], v[12:13]
	v_fma_f64 v[10:11], -v[15:16], v[4:5], v[12:13]
	s_delay_alu instid0(VALU_DEP_3) | instskip(SKIP_1) | instid1(VALU_DEP_4)
	v_fma_f64 v[12:13], v[6:7], v[4:5], -v[0:1]
	v_fma_f64 v[4:5], v[6:7], v[4:5], v[0:1]
	v_fma_f64 v[0:1], -v[6:7], v[2:3], v[8:9]
	s_delay_alu instid0(VALU_DEP_4) | instskip(NEXT) | instid1(VALU_DEP_4)
	v_fma_f64 v[6:7], v[6:7], v[2:3], v[10:11]
	v_fma_f64 v[8:9], v[15:16], v[2:3], v[12:13]
	s_delay_alu instid0(VALU_DEP_4)
	v_fma_f64 v[2:3], v[15:16], v[2:3], v[4:5]
	v_dual_mov_b32 v4, v162 :: v_dual_mov_b32 v5, v163
	ds_store_b128 v14, v[6:9] offset:51840
.LBB0_17:
	s_wait_alu 0xfffe
	s_and_not1_saveexec_b32 s0, s1
	s_cbranch_execz .LBB0_19
; %bb.18:
	v_mov_b32_e32 v12, 0
	ds_load_b128 v[4:7], v12 offset:25920
	s_wait_dscnt 0x0
	v_add_f64_e32 v[8:9], v[4:5], v[4:5]
	v_mul_f64_e32 v[10:11], -2.0, v[6:7]
	v_mov_b32_e32 v4, 0
	v_mov_b32_e32 v5, 0
	ds_store_b128 v12, v[8:11] offset:25920
.LBB0_19:
	s_wait_alu 0xfffe
	s_or_b32 exec_lo, exec_lo, s0
	v_lshlrev_b64_e32 v[4:5], 4, v[4:5]
	s_add_nc_u64 s[0:1], s[8:9], 0xca50
	v_and_b32_e32 v80, 0xff, v162
	v_add_nc_u16 v121, v162, 0x6c
	v_add_nc_u32_e32 v79, 0x288, v162
	v_add_nc_u32_e32 v120, 0xd8, v162
	s_wait_alu 0xfffe
	v_add_co_u32 v4, s0, s0, v4
	s_wait_alu 0xf1ff
	v_add_co_ci_u32_e64 v5, s0, s1, v5, s0
	v_and_b32_e32 v127, 0xff, v121
	v_add_nc_u32_e32 v122, 0x144, v162
	v_add_nc_u32_e32 v123, 0x1b0, v162
	s_clause 0x1
	global_load_b128 v[6:9], v[4:5], off offset:1728
	global_load_b128 v[10:13], v[4:5], off offset:3456
	ds_store_b128 v174, v[0:3]
	ds_load_b128 v[0:3], v174 offset:1728
	ds_load_b128 v[15:18], v14 offset:50112
	global_load_b128 v[19:22], v[4:5], off offset:5184
	v_add_nc_u32_e32 v163, 0x2f4, v162
	v_add_nc_u32_e32 v239, 0x360, v162
	;; [unrolled: 1-line block ×3, first 2 shown]
	v_and_b32_e32 v126, 0xffff, v120
	v_and_b32_e32 v125, 0xffff, v122
	;; [unrolled: 1-line block ×3, first 2 shown]
	s_mov_b32 s10, 0xe8584caa
	s_mov_b32 s11, 0xbfebb67a
	;; [unrolled: 1-line block ×3, first 2 shown]
	s_wait_alu 0xfffe
	s_mov_b32 s4, s10
	v_cmp_gt_u32_e64 s0, 0x5a, v162
	s_mov_b32 s22, 0x134454ff
	s_mov_b32 s23, 0xbfee6f0e
	;; [unrolled: 1-line block ×7, first 2 shown]
	s_wait_dscnt 0x0
	v_add_f64_e32 v[23:24], v[0:1], v[15:16]
	v_add_f64_e32 v[25:26], v[17:18], v[2:3]
	v_add_f64_e64 v[27:28], v[0:1], -v[15:16]
	v_add_f64_e64 v[0:1], v[2:3], -v[17:18]
	s_wait_alu 0xfffe
	s_mov_b32 s12, s20
	s_mov_b32 s16, 0x372fe950
	;; [unrolled: 1-line block ×9, first 2 shown]
	s_wait_loadcnt 0x2
	s_delay_alu instid0(VALU_DEP_2) | instskip(NEXT) | instid1(VALU_DEP_2)
	v_fma_f64 v[2:3], v[27:28], v[8:9], v[23:24]
	v_fma_f64 v[15:16], v[25:26], v[8:9], v[0:1]
	v_fma_f64 v[17:18], -v[27:28], v[8:9], v[23:24]
	v_fma_f64 v[8:9], v[25:26], v[8:9], -v[0:1]
	s_delay_alu instid0(VALU_DEP_4) | instskip(NEXT) | instid1(VALU_DEP_4)
	v_fma_f64 v[0:1], -v[25:26], v[6:7], v[2:3]
	v_fma_f64 v[2:3], v[27:28], v[6:7], v[15:16]
	s_delay_alu instid0(VALU_DEP_4) | instskip(NEXT) | instid1(VALU_DEP_4)
	v_fma_f64 v[15:16], v[25:26], v[6:7], v[17:18]
	v_fma_f64 v[17:18], v[27:28], v[6:7], v[8:9]
	ds_store_b128 v174, v[0:3] offset:1728
	ds_store_b128 v14, v[15:18] offset:50112
	ds_load_b128 v[0:3], v174 offset:3456
	ds_load_b128 v[6:9], v14 offset:48384
	global_load_b128 v[15:18], v[4:5], off offset:6912
	s_wait_dscnt 0x0
	v_add_f64_e32 v[23:24], v[0:1], v[6:7]
	v_add_f64_e32 v[25:26], v[8:9], v[2:3]
	v_add_f64_e64 v[27:28], v[0:1], -v[6:7]
	v_add_f64_e64 v[0:1], v[2:3], -v[8:9]
	s_wait_loadcnt 0x2
	s_delay_alu instid0(VALU_DEP_2) | instskip(NEXT) | instid1(VALU_DEP_2)
	v_fma_f64 v[2:3], v[27:28], v[12:13], v[23:24]
	v_fma_f64 v[6:7], v[25:26], v[12:13], v[0:1]
	v_fma_f64 v[8:9], -v[27:28], v[12:13], v[23:24]
	v_fma_f64 v[12:13], v[25:26], v[12:13], -v[0:1]
	s_delay_alu instid0(VALU_DEP_4) | instskip(NEXT) | instid1(VALU_DEP_4)
	v_fma_f64 v[0:1], -v[25:26], v[10:11], v[2:3]
	v_fma_f64 v[2:3], v[27:28], v[10:11], v[6:7]
	s_delay_alu instid0(VALU_DEP_4) | instskip(NEXT) | instid1(VALU_DEP_4)
	v_fma_f64 v[6:7], v[25:26], v[10:11], v[8:9]
	v_fma_f64 v[8:9], v[27:28], v[10:11], v[12:13]
	ds_store_b128 v174, v[0:3] offset:3456
	ds_store_b128 v14, v[6:9] offset:48384
	ds_load_b128 v[0:3], v174 offset:5184
	ds_load_b128 v[6:9], v14 offset:46656
	global_load_b128 v[10:13], v[4:5], off offset:8640
	s_wait_dscnt 0x0
	v_add_f64_e32 v[23:24], v[0:1], v[6:7]
	v_add_f64_e32 v[25:26], v[8:9], v[2:3]
	v_add_f64_e64 v[27:28], v[0:1], -v[6:7]
	v_add_f64_e64 v[0:1], v[2:3], -v[8:9]
	;; [unrolled: 22-line block ×11, first 2 shown]
	s_wait_loadcnt 0x2
	s_delay_alu instid0(VALU_DEP_2) | instskip(NEXT) | instid1(VALU_DEP_2)
	v_fma_f64 v[8:9], v[10:11], v[21:22], v[4:5]
	v_fma_f64 v[12:13], v[23:24], v[21:22], v[6:7]
	v_fma_f64 v[25:26], -v[10:11], v[21:22], v[4:5]
	v_fma_f64 v[21:22], v[23:24], v[21:22], -v[6:7]
	s_delay_alu instid0(VALU_DEP_4) | instskip(NEXT) | instid1(VALU_DEP_4)
	v_fma_f64 v[4:5], -v[23:24], v[19:20], v[8:9]
	v_fma_f64 v[6:7], v[10:11], v[19:20], v[12:13]
	s_delay_alu instid0(VALU_DEP_4) | instskip(NEXT) | instid1(VALU_DEP_4)
	v_fma_f64 v[8:9], v[23:24], v[19:20], v[25:26]
	v_fma_f64 v[10:11], v[10:11], v[19:20], v[21:22]
	ds_store_b128 v174, v[4:7] offset:20736
	ds_store_b128 v14, v[8:11] offset:31104
	ds_load_b128 v[4:7], v174 offset:22464
	ds_load_b128 v[8:11], v14 offset:29376
	s_wait_dscnt 0x0
	v_add_f64_e32 v[12:13], v[4:5], v[8:9]
	v_add_f64_e32 v[19:20], v[10:11], v[6:7]
	v_add_f64_e64 v[21:22], v[4:5], -v[8:9]
	v_add_f64_e64 v[4:5], v[6:7], -v[10:11]
	s_wait_loadcnt 0x1
	s_delay_alu instid0(VALU_DEP_2) | instskip(NEXT) | instid1(VALU_DEP_2)
	v_fma_f64 v[6:7], v[21:22], v[17:18], v[12:13]
	v_fma_f64 v[8:9], v[19:20], v[17:18], v[4:5]
	v_fma_f64 v[10:11], -v[21:22], v[17:18], v[12:13]
	v_fma_f64 v[12:13], v[19:20], v[17:18], -v[4:5]
	s_delay_alu instid0(VALU_DEP_4) | instskip(NEXT) | instid1(VALU_DEP_4)
	v_fma_f64 v[4:5], -v[19:20], v[15:16], v[6:7]
	v_fma_f64 v[6:7], v[21:22], v[15:16], v[8:9]
	s_delay_alu instid0(VALU_DEP_4) | instskip(NEXT) | instid1(VALU_DEP_4)
	v_fma_f64 v[8:9], v[19:20], v[15:16], v[10:11]
	v_fma_f64 v[10:11], v[21:22], v[15:16], v[12:13]
	ds_store_b128 v174, v[4:7] offset:22464
	ds_store_b128 v14, v[8:11] offset:29376
	ds_load_b128 v[6:9], v174 offset:24192
	ds_load_b128 v[10:13], v14 offset:27648
	v_mul_u32_u24_e32 v19, 0xaaab, v124
	s_delay_alu instid0(VALU_DEP_1) | instskip(NEXT) | instid1(VALU_DEP_1)
	v_lshrrev_b32_e32 v85, 17, v19
	v_mul_lo_u16 v253, v85, 3
	s_wait_dscnt 0x0
	v_add_f64_e32 v[15:16], v[6:7], v[10:11]
	v_add_f64_e32 v[4:5], v[12:13], v[8:9]
	v_add_f64_e64 v[6:7], v[6:7], -v[10:11]
	v_add_f64_e64 v[17:18], v[8:9], -v[12:13]
	s_wait_loadcnt 0x0
	s_delay_alu instid0(VALU_DEP_2) | instskip(NEXT) | instid1(VALU_DEP_2)
	v_fma_f64 v[8:9], v[6:7], v[2:3], v[15:16]
	v_fma_f64 v[10:11], v[4:5], v[2:3], v[17:18]
	v_fma_f64 v[12:13], -v[6:7], v[2:3], v[15:16]
	v_fma_f64 v[2:3], v[4:5], v[2:3], -v[17:18]
	v_add_nc_u32_e32 v16, 0x21c, v162
	v_mul_lo_u16 v17, 0xab, v80
	v_mul_u32_u24_e32 v18, 0xaaab, v125
	v_mad_u32_u24 v15, v162, 48, 0
	v_mul_lo_u16 v80, v80, 57
	s_delay_alu instid0(VALU_DEP_4)
	v_lshrrev_b16 v82, 9, v17
	v_mul_u32_u24_e32 v17, 0xaaab, v126
	v_lshrrev_b32_e32 v90, 17, v18
	v_add_nc_u32_e32 v241, 0x6548, v15
	v_add_nc_u32_e32 v242, 0x6558, v15
	v_mul_lo_u16 v20, v82, 3
	v_lshrrev_b32_e32 v89, 17, v17
	v_add_nc_u32_e32 v243, 0x7988, v15
	v_add_nc_u32_e32 v244, 0x7998, v15
	;; [unrolled: 1-line block ×8, first 2 shown]
	v_mul_lo_u16 v251, v89, 3
	v_mul_lo_u16 v252, v90, 3
	v_mul_u32_u24_e32 v89, 0x90, v89
	v_mul_u32_u24_e32 v90, 0x90, v90
	v_fma_f64 v[8:9], -v[4:5], v[0:1], v[8:9]
	v_fma_f64 v[10:11], v[6:7], v[0:1], v[10:11]
	v_fma_f64 v[4:5], v[4:5], v[0:1], v[12:13]
	v_fma_f64 v[6:7], v[6:7], v[0:1], v[2:3]
	v_and_b32_e32 v0, 0xffff, v16
	v_and_b32_e32 v1, 0xffff, v79
	v_mul_lo_u16 v13, 0xab, v127
	v_and_b32_e32 v2, 0xffff, v163
	v_and_b32_e32 v3, 0xffff, v239
	v_mul_u32_u24_e32 v0, 0xaaab, v0
	v_mul_u32_u24_e32 v1, 0xaaab, v1
	v_lshrrev_b16 v88, 9, v13
	v_and_b32_e32 v12, 0xffff, v240
	v_mul_u32_u24_e32 v2, 0xaaab, v2
	v_mul_u32_u24_e32 v3, 0xaaab, v3
	v_lshrrev_b32_e32 v86, 17, v0
	v_lshrrev_b32_e32 v87, 17, v1
	v_sub_nc_u16 v0, v162, v20
	v_mul_lo_u16 v1, v88, 3
	v_mul_u32_u24_e32 v12, 0xaaab, v12
	v_lshrrev_b32_e32 v91, 17, v2
	v_lshrrev_b32_e32 v81, 17, v3
	v_and_b32_e32 v84, 0xff, v0
	v_sub_nc_u16 v254, v121, v1
	ds_store_b128 v174, v[8:11] offset:24192
	ds_store_b128 v14, v[4:7] offset:27648
	global_wb scope:SCOPE_SE
	s_wait_dscnt 0x0
	s_barrier_signal -1
	s_barrier_wait -1
	global_inv scope:SCOPE_SE
	global_wb scope:SCOPE_SE
	s_barrier_signal -1
	s_barrier_wait -1
	global_inv scope:SCOPE_SE
	ds_load_b128 v[0:3], v174 offset:1728
	ds_load_b128 v[4:7], v174 offset:3456
	;; [unrolled: 1-line block ×6, first 2 shown]
	ds_load_b128 v[29:32], v174
	ds_load_b128 v[33:36], v174 offset:50112
	ds_load_b128 v[37:40], v174 offset:36288
	ds_load_b128 v[41:44], v174 offset:38016
	ds_load_b128 v[45:48], v174 offset:5184
	ds_load_b128 v[49:52], v174 offset:6912
	ds_load_b128 v[53:56], v174 offset:22464
	ds_load_b128 v[57:60], v174 offset:24192
	ds_load_b128 v[61:64], v174 offset:34560
	ds_load_b128 v[65:68], v174 offset:32832
	ds_load_b128 v[69:72], v174 offset:39744
	ds_load_b128 v[73:76], v174 offset:41472
	ds_load_b128 v[92:95], v174 offset:8640
	ds_load_b128 v[96:99], v174 offset:10368
	ds_load_b128 v[100:103], v174 offset:25920
	ds_load_b128 v[104:107], v174 offset:27648
	ds_load_b128 v[108:111], v174 offset:43200
	ds_load_b128 v[112:115], v174 offset:44928
	ds_load_b128 v[116:119], v174 offset:12096
	ds_load_b128 v[128:131], v174 offset:13824
	ds_load_b128 v[132:135], v174 offset:29376
	ds_load_b128 v[136:139], v174 offset:31104
	ds_load_b128 v[140:143], v174 offset:46656
	ds_load_b128 v[144:147], v174 offset:48384
	v_lshrrev_b32_e32 v83, 17, v12
	s_wait_dscnt 0x17
	v_add_f64_e32 v[12:13], v[29:30], v[21:22]
	v_add_f64_e32 v[77:78], v[31:32], v[23:24]
	;; [unrolled: 1-line block ×3, first 2 shown]
	s_wait_dscnt 0xf
	v_add_f64_e32 v[156:157], v[21:22], v[61:62]
	v_add_f64_e64 v[158:159], v[23:24], -v[63:64]
	v_add_f64_e32 v[23:24], v[23:24], v[63:64]
	v_add_f64_e32 v[150:151], v[2:3], v[10:11]
	v_add_f64_e64 v[160:161], v[21:22], -v[61:62]
	v_add_f64_e32 v[21:22], v[8:9], v[37:38]
	v_add_f64_e32 v[175:176], v[10:11], v[39:40]
	;; [unrolled: 1-line block ×6, first 2 shown]
	s_wait_dscnt 0xd
	v_add_f64_e32 v[187:188], v[53:54], v[69:70]
	v_add_f64_e64 v[189:190], v[55:56], -v[71:72]
	v_add_f64_e32 v[55:56], v[55:56], v[71:72]
	v_add_f64_e32 v[168:169], v[45:46], v[53:54]
	s_wait_dscnt 0xc
	v_add_f64_e32 v[195:196], v[57:58], v[73:74]
	v_add_f64_e32 v[197:198], v[59:60], v[75:76]
	s_wait_dscnt 0x7
	;; [unrolled: 3-line block ×3, first 2 shown]
	v_add_f64_e32 v[211:212], v[104:105], v[112:113]
	v_add_f64_e32 v[213:214], v[106:107], v[114:115]
	v_add_f64_e64 v[191:192], v[53:54], -v[69:70]
	v_add_f64_e32 v[53:54], v[49:50], v[57:58]
	v_add_f64_e64 v[199:200], v[57:58], -v[73:74]
	v_add_f64_e32 v[57:58], v[92:93], v[100:101]
	v_add_f64_e32 v[209:210], v[98:99], v[106:107]
	s_wait_dscnt 0x1
	v_add_f64_e32 v[219:220], v[132:133], v[140:141]
	v_add_f64_e32 v[221:222], v[134:135], v[142:143]
	s_wait_dscnt 0x0
	v_add_f64_e32 v[227:228], v[136:137], v[144:145]
	v_add_f64_e32 v[229:230], v[138:139], v[146:147]
	;; [unrolled: 1-line block ×8, first 2 shown]
	v_add_f64_e64 v[177:178], v[8:9], -v[37:38]
	v_add_f64_e32 v[8:9], v[12:13], v[61:62]
	v_fma_f64 v[12:13], v[156:157], -0.5, v[29:30]
	v_add_f64_e32 v[152:153], v[4:5], v[17:18]
	v_fma_f64 v[31:32], v[23:24], -0.5, v[31:32]
	v_add_f64_e64 v[172:173], v[10:11], -v[39:40]
	v_add_f64_e64 v[181:182], v[19:20], -v[43:44]
	;; [unrolled: 1-line block ×3, first 2 shown]
	v_add_f64_e32 v[207:208], v[96:97], v[104:105]
	v_add_f64_e32 v[217:218], v[118:119], v[134:135]
	;; [unrolled: 1-line block ×7, first 2 shown]
	v_fma_f64 v[37:38], v[21:22], -0.5, v[0:1]
	v_fma_f64 v[39:40], v[175:176], -0.5, v[2:3]
	v_add_f64_e32 v[2:3], v[154:155], v[43:44]
	v_fma_f64 v[43:44], v[179:180], -0.5, v[4:5]
	v_fma_f64 v[61:62], v[183:184], -0.5, v[6:7]
	v_add_f64_e32 v[10:11], v[77:78], v[63:64]
	v_fma_f64 v[63:64], v[187:188], -0.5, v[45:46]
	v_fma_f64 v[55:56], v[55:56], -0.5, v[47:48]
	v_add_f64_e64 v[59:60], v[59:60], -v[75:76]
	v_add_f64_e32 v[4:5], v[168:169], v[69:70]
	v_add_f64_e32 v[6:7], v[170:171], v[71:72]
	v_fma_f64 v[69:70], v[195:196], -0.5, v[49:50]
	v_fma_f64 v[71:72], v[197:198], -0.5, v[51:52]
	v_add_f64_e64 v[102:103], v[102:103], -v[110:111]
	v_fma_f64 v[77:78], v[203:204], -0.5, v[92:93]
	v_add_f64_e64 v[100:101], v[100:101], -v[108:109]
	;; [unrolled: 2-line block ×5, first 2 shown]
	v_add_f64_e32 v[21:22], v[53:54], v[73:74]
	v_add_f64_e32 v[73:74], v[57:58], v[108:109]
	;; [unrolled: 1-line block ×3, first 2 shown]
	v_fma_f64 v[114:115], v[219:220], -0.5, v[116:117]
	v_add_f64_e64 v[132:133], v[132:133], -v[140:141]
	v_fma_f64 v[116:117], v[221:222], -0.5, v[118:119]
	v_add_f64_e64 v[138:139], v[138:139], -v[146:147]
	;; [unrolled: 2-line block ×4, first 2 shown]
	v_add_f64_e32 v[23:24], v[193:194], v[75:76]
	v_add_f64_e32 v[75:76], v[201:202], v[110:111]
	;; [unrolled: 1-line block ×4, first 2 shown]
	v_fma_f64 v[146:147], v[235:236], -0.5, v[25:26]
	v_add_f64_e64 v[65:66], v[65:66], -v[33:34]
	v_fma_f64 v[148:149], v[237:238], -0.5, v[27:28]
	v_fma_f64 v[25:26], v[158:159], s[10:11], v[12:13]
	v_fma_f64 v[27:28], v[160:161], s[4:5], v[31:32]
	;; [unrolled: 1-line block ×4, first 2 shown]
	v_add_f64_e32 v[94:95], v[207:208], v[112:113]
	v_add_f64_e32 v[112:113], v[217:218], v[142:143]
	;; [unrolled: 1-line block ×5, first 2 shown]
	v_fma_f64 v[33:34], v[172:173], s[10:11], v[37:38]
	v_fma_f64 v[35:36], v[177:178], s[4:5], v[39:40]
	;; [unrolled: 1-line block ×4, first 2 shown]
	v_add_f64_e32 v[0:1], v[152:153], v[41:42]
	v_fma_f64 v[41:42], v[181:182], s[10:11], v[43:44]
	v_fma_f64 v[45:46], v[181:182], s[4:5], v[43:44]
	;; [unrolled: 1-line block ×32, first 2 shown]
	v_lshlrev_b32_e32 v255, 5, v84
	global_wb scope:SCOPE_SE
	s_barrier_signal -1
	s_barrier_wait -1
	global_inv scope:SCOPE_SE
	ds_store_b128 v15, v[8:11]
	ds_store_b128 v15, v[25:28] offset:16
	ds_store_b128 v15, v[29:32] offset:32
	;; [unrolled: 1-line block ×14, first 2 shown]
	ds_store_b64 v15, v[73:74] offset:25920
	ds_store_2addr_b64 v241, v[75:76], v[12:13] offset1:1
	ds_store_2addr_b64 v242, v[71:72], v[69:70] offset1:1
	ds_store_b64 v15, v[77:78] offset:25960
	ds_store_b64 v15, v[94:95] offset:31104
	ds_store_2addr_b64 v243, v[108:109], v[92:93] offset1:1
	ds_store_2addr_b64 v244, v[100:101], v[96:97] offset1:1
	ds_store_b64 v15, v[98:99] offset:31144
	;; [unrolled: 4-line block ×5, first 2 shown]
	v_and_b32_e32 v92, 0xff, v254
	global_wb scope:SCOPE_SE
	s_wait_dscnt 0x0
	s_barrier_signal -1
	s_barrier_wait -1
	global_inv scope:SCOPE_SE
	global_load_b128 v[56:59], v255, s[8:9]
	v_lshlrev_b32_e32 v4, 5, v92
	global_load_b128 v[52:55], v255, s[8:9] offset:16
	v_sub_nc_u16 v3, v120, v251
	v_mul_lo_u16 v1, v87, 3
	v_sub_nc_u16 v6, v122, v252
	s_clause 0x1
	global_load_b128 v[72:75], v4, s[8:9]
	global_load_b128 v[68:71], v4, s[8:9] offset:16
	v_mul_lo_u16 v0, v86, 3
	v_and_b32_e32 v93, 0xffff, v3
	v_mul_lo_u16 v2, v91, 3
	v_sub_nc_u16 v3, v123, v253
	v_sub_nc_u16 v1, v79, v1
	v_and_b32_e32 v94, 0xffff, v6
	v_sub_nc_u16 v0, v16, v0
	v_lshlrev_b32_e32 v6, 5, v93
	v_sub_nc_u16 v12, v163, v2
	v_and_b32_e32 v95, 0xffff, v3
	v_lshlrev_b32_e32 v2, 5, v94
	v_and_b32_e32 v97, 0xffff, v1
	global_load_b128 v[60:63], v6, s[8:9]
	v_mul_lo_u16 v5, v81, 3
	v_and_b32_e32 v96, 0xffff, v0
	global_load_b128 v[48:51], v6, s[8:9] offset:16
	v_mul_lo_u16 v24, v83, 3
	global_load_b128 v[20:23], v2, s[8:9]
	v_lshlrev_b32_e32 v4, 5, v95
	v_lshlrev_b32_e32 v26, 5, v97
	v_sub_nc_u16 v25, v239, v5
	global_load_b128 v[0:3], v2, s[8:9] offset:16
	v_lshlrev_b32_e32 v13, 5, v96
	global_load_b128 v[8:11], v4, s[8:9]
	v_and_b32_e32 v98, 0xffff, v12
	v_sub_nc_u16 v32, v240, v24
	s_clause 0x2
	global_load_b128 v[28:31], v26, s[8:9]
	global_load_b128 v[4:7], v4, s[8:9] offset:16
	global_load_b128 v[16:19], v13, s[8:9]
	v_and_b32_e32 v99, 0xffff, v25
	s_clause 0x1
	global_load_b128 v[12:15], v13, s[8:9] offset:16
	global_load_b128 v[24:27], v26, s[8:9] offset:16
	v_lshlrev_b32_e32 v33, 5, v98
	v_and_b32_e32 v100, 0xffff, v32
	v_lshlrev_b32_e32 v44, 5, v99
	v_lshrrev_b16 v129, 9, v80
	v_and_b32_e32 v80, 0xffff, v82
	s_clause 0x2
	global_load_b128 v[40:43], v33, s[8:9]
	global_load_b128 v[36:39], v33, s[8:9] offset:16
	global_load_b128 v[32:35], v44, s[8:9]
	v_lshlrev_b32_e32 v76, 5, v100
	s_clause 0x2
	global_load_b128 v[44:47], v44, s[8:9] offset:16
	global_load_b128 v[64:67], v76, s[8:9]
	global_load_b128 v[76:79], v76, s[8:9] offset:16
	v_mul_lo_u16 v82, v129, 9
	v_mul_u32_u24_e32 v80, 0x90, v80
	v_and_b32_e32 v88, 0xffff, v88
	v_mul_u32_u24_e32 v101, 0x90, v85
	v_mul_u32_u24_e32 v243, 0x90, v81
	v_sub_nc_u16 v82, v162, v82
	v_mul_u32_u24_e32 v244, 0x90, v83
	v_mul_u32_u24_e32 v102, 0x90, v86
	v_mul_u32_u24_e32 v119, 0x90, v87
	v_mul_u32_u24_e32 v163, 0x90, v91
	v_and_b32_e32 v128, 0xff, v82
	v_lshlrev_b32_e32 v82, 4, v84
	v_mul_u32_u24_e32 v91, 0x90, v88
	v_lshlrev_b32_e32 v92, 4, v92
	v_lshlrev_b32_e32 v93, 4, v93
	v_mul_u32_u24_e32 v85, 9, v128
	v_add3_u32 v245, 0, v80, v82
	ds_load_b128 v[81:84], v174 offset:17280
	v_lshlrev_b32_e32 v94, 4, v94
	v_lshlrev_b32_e32 v95, 4, v95
	;; [unrolled: 1-line block ×3, first 2 shown]
	ds_load_b128 v[85:88], v174 offset:34560
	v_lshlrev_b32_e32 v96, 4, v96
	v_lshlrev_b32_e32 v246, 4, v97
	;; [unrolled: 1-line block ×5, first 2 shown]
	v_add3_u32 v250, 0, v91, v92
	v_add3_u32 v251, 0, v89, v93
	;; [unrolled: 1-line block ×5, first 2 shown]
	ds_load_b128 v[89:92], v174 offset:19008
	ds_load_b128 v[93:96], v174 offset:15552
	;; [unrolled: 1-line block ×19, first 2 shown]
	ds_load_b128 v[187:190], v174
	ds_load_b128 v[191:194], v174 offset:1728
	ds_load_b128 v[195:198], v174 offset:3456
	v_and_b32_e32 v129, 0xffff, v129
	s_wait_loadcnt_dscnt 0x1317
	v_mul_f64_e32 v[117:118], v[83:84], v[58:59]
	v_mul_f64_e32 v[58:59], v[81:82], v[58:59]
	s_wait_loadcnt_dscnt 0x1216
	v_mul_f64_e32 v[172:173], v[87:88], v[54:55]
	v_mul_f64_e32 v[54:55], v[85:86], v[54:55]
	;; [unrolled: 3-line block ×4, first 2 shown]
	s_wait_loadcnt 0xf
	v_mul_f64_e32 v[203:204], v[103:104], v[62:63]
	v_mul_f64_e32 v[62:63], v[101:102], v[62:63]
	s_wait_loadcnt_dscnt 0xe10
	v_mul_f64_e32 v[205:206], v[111:112], v[50:51]
	v_mul_f64_e32 v[207:208], v[109:110], v[50:51]
	s_wait_loadcnt_dscnt 0xd0f
	;; [unrolled: 3-line block ×3, first 2 shown]
	v_mul_f64_e32 v[211:212], v[136:137], v[2:3]
	v_mul_f64_e32 v[2:3], v[134:135], v[2:3]
	s_wait_loadcnt 0xb
	v_mul_f64_e32 v[213:214], v[132:133], v[10:11]
	v_mul_f64_e32 v[10:11], v[130:131], v[10:11]
	s_wait_loadcnt_dscnt 0x90c
	v_mul_f64_e32 v[215:216], v[140:141], v[6:7]
	v_mul_f64_e32 v[6:7], v[138:139], v[6:7]
	s_wait_loadcnt_dscnt 0x80b
	;; [unrolled: 3-line block ×3, first 2 shown]
	v_mul_f64_e32 v[221:222], v[152:153], v[14:15]
	v_mul_f64_e32 v[14:15], v[150:151], v[14:15]
	v_fma_f64 v[81:82], v[81:82], v[56:57], v[117:118]
	v_mul_f64_e32 v[117:118], v[148:149], v[30:31]
	v_mul_f64_e32 v[30:31], v[146:147], v[30:31]
	s_wait_loadcnt_dscnt 0x608
	v_mul_f64_e32 v[223:224], v[156:157], v[26:27]
	v_mul_f64_e32 v[26:27], v[154:155], v[26:27]
	v_fma_f64 v[85:86], v[85:86], v[52:53], v[172:173]
	s_wait_loadcnt_dscnt 0x507
	v_mul_f64_e32 v[172:173], v[160:161], v[42:43]
	v_mul_f64_e32 v[42:43], v[158:159], v[42:43]
	s_wait_loadcnt_dscnt 0x405
	v_mul_f64_e32 v[225:226], v[177:178], v[38:39]
	v_mul_f64_e32 v[38:39], v[175:176], v[38:39]
	v_fma_f64 v[89:90], v[89:90], v[72:73], v[199:200]
	v_fma_f64 v[72:73], v[91:92], v[72:73], -v[74:75]
	s_wait_loadcnt 0x3
	v_mul_f64_e32 v[74:75], v[170:171], v[34:35]
	v_mul_f64_e32 v[34:35], v[168:169], v[34:35]
	s_wait_loadcnt_dscnt 0x204
	v_mul_f64_e32 v[91:92], v[181:182], v[46:47]
	v_mul_f64_e32 v[199:200], v[179:180], v[46:47]
	v_fma_f64 v[105:106], v[105:106], v[68:69], v[201:202]
	v_fma_f64 v[70:71], v[107:108], v[68:69], -v[70:71]
	s_wait_loadcnt 0x1
	v_mul_f64_e32 v[107:108], v[99:100], v[66:67]
	v_mul_f64_e32 v[201:202], v[97:98], v[66:67]
	s_wait_loadcnt_dscnt 0x3
	v_mul_f64_e32 v[227:228], v[185:186], v[78:79]
	v_mul_f64_e32 v[78:79], v[183:184], v[78:79]
	v_fma_f64 v[83:84], v[83:84], v[56:57], -v[58:59]
	v_fma_f64 v[87:88], v[87:88], v[52:53], -v[54:55]
	v_fma_f64 v[101:102], v[101:102], v[60:61], v[203:204]
	v_fma_f64 v[62:63], v[103:104], v[60:61], -v[62:63]
	v_fma_f64 v[103:104], v[109:110], v[48:49], v[205:206]
	;; [unrolled: 2-line block ×12, first 2 shown]
	v_fma_f64 v[36:37], v[177:178], v[36:37], -v[38:39]
	ds_load_b128 v[50:53], v174 offset:5184
	ds_load_b128 v[54:57], v174 offset:6912
	;; [unrolled: 1-line block ×4, first 2 shown]
	v_fma_f64 v[24:25], v[168:169], v[32:33], v[74:75]
	v_fma_f64 v[26:27], v[170:171], v[32:33], -v[34:35]
	v_fma_f64 v[34:35], v[179:180], v[44:45], v[91:92]
	v_fma_f64 v[38:39], v[181:182], v[44:45], -v[199:200]
	v_add_f64_e32 v[91:92], v[89:90], v[105:106]
	ds_load_b128 v[18:21], v174 offset:12096
	ds_load_b128 v[66:69], v174 offset:13824
	v_fma_f64 v[28:29], v[97:98], v[64:65], v[107:108]
	v_fma_f64 v[32:33], v[99:100], v[64:65], -v[201:202]
	v_fma_f64 v[42:43], v[183:184], v[76:77], v[227:228]
	v_fma_f64 v[44:45], v[185:186], v[76:77], -v[78:79]
	v_add_f64_e32 v[64:65], v[81:82], v[85:86]
	v_add_f64_e32 v[74:75], v[83:84], v[87:88]
	s_wait_dscnt 0x8
	v_add_f64_e32 v[76:77], v[189:190], v[83:84]
	v_add_f64_e32 v[78:79], v[187:188], v[81:82]
	;; [unrolled: 1-line block ×3, first 2 shown]
	s_wait_dscnt 0x7
	v_add_f64_e32 v[99:100], v[193:194], v[72:73]
	v_add_f64_e32 v[136:137], v[101:102], v[103:104]
	;; [unrolled: 1-line block ×5, first 2 shown]
	s_wait_dscnt 0x5
	v_add_f64_e32 v[148:149], v[52:53], v[22:23]
	v_add_f64_e64 v[152:153], v[22:23], -v[115:116]
	v_add_f64_e32 v[22:23], v[0:1], v[130:131]
	v_add_f64_e32 v[154:155], v[2:3], v[132:133]
	;; [unrolled: 1-line block ×10, first 2 shown]
	s_wait_dscnt 0x2
	v_add_f64_e32 v[199:200], v[60:61], v[10:11]
	v_add_f64_e32 v[156:157], v[56:57], v[2:3]
	v_add_f64_e32 v[207:208], v[12:13], v[40:41]
	v_add_f64_e32 v[209:210], v[14:15], v[36:37]
	v_add_f64_e64 v[83:84], v[83:84], -v[87:88]
	v_add_f64_e64 v[81:82], v[81:82], -v[85:86]
	v_add_f64_e32 v[177:178], v[46:47], v[4:5]
	s_wait_dscnt 0x1
	v_add_f64_e32 v[211:212], v[20:21], v[14:15]
	v_add_f64_e32 v[219:220], v[24:25], v[34:35]
	;; [unrolled: 1-line block ×4, first 2 shown]
	s_wait_dscnt 0x0
	v_add_f64_e32 v[223:224], v[68:69], v[26:27]
	v_add_f64_e32 v[237:238], v[93:94], v[28:29]
	;; [unrolled: 1-line block ×5, first 2 shown]
	v_fma_f64 v[64:65], v[64:65], -0.5, v[187:188]
	v_fma_f64 v[74:75], v[74:75], -0.5, v[189:190]
	v_add_f64_e64 v[72:73], v[72:73], -v[70:71]
	v_add_f64_e64 v[89:90], v[89:90], -v[105:106]
	v_add_f64_e32 v[158:159], v[54:55], v[0:1]
	v_add_f64_e64 v[160:161], v[2:3], -v[132:133]
	v_add_f64_e64 v[168:169], v[0:1], -v[130:131]
	v_add_f64_e32 v[2:3], v[76:77], v[87:88]
	v_add_f64_e32 v[0:1], v[78:79], v[85:86]
	v_fma_f64 v[76:77], v[91:92], -0.5, v[191:192]
	v_fma_f64 v[78:79], v[97:98], -0.5, v[193:194]
	v_add_f64_e64 v[62:63], v[62:63], -v[109:110]
	v_add_f64_e64 v[101:102], v[101:102], -v[103:104]
	v_add_f64_e32 v[175:176], v[48:49], v[6:7]
	v_add_f64_e64 v[179:180], v[6:7], -v[134:135]
	v_add_f64_e32 v[6:7], v[99:100], v[70:71]
	v_fma_f64 v[70:71], v[136:137], -0.5, v[195:196]
	v_fma_f64 v[85:86], v[138:139], -0.5, v[197:198]
	v_add_f64_e64 v[111:112], v[111:112], -v[113:114]
	v_fma_f64 v[87:88], v[144:145], -0.5, v[50:51]
	v_fma_f64 v[91:92], v[146:147], -0.5, v[52:53]
	;; [unrolled: 1-line block ×4, first 2 shown]
	v_add_f64_e64 v[181:182], v[4:5], -v[16:17]
	v_add_f64_e32 v[201:202], v[58:59], v[8:9]
	v_add_f64_e64 v[205:206], v[8:9], -v[30:31]
	v_add_f64_e32 v[4:5], v[107:108], v[105:106]
	v_add_f64_e32 v[8:9], v[142:143], v[103:104]
	v_fma_f64 v[103:104], v[170:171], -0.5, v[46:47]
	v_fma_f64 v[105:106], v[172:173], -0.5, v[48:49]
	v_add_f64_e64 v[203:204], v[10:11], -v[117:118]
	v_add_f64_e32 v[10:11], v[140:141], v[109:110]
	v_fma_f64 v[107:108], v[183:184], -0.5, v[58:59]
	v_fma_f64 v[109:110], v[185:186], -0.5, v[60:61]
	v_add_f64_e64 v[215:216], v[14:15], -v[36:37]
	v_add_f64_e64 v[217:218], v[12:13], -v[40:41]
	v_add_f64_e32 v[12:13], v[150:151], v[113:114]
	v_fma_f64 v[113:114], v[207:208], -0.5, v[18:19]
	v_fma_f64 v[20:21], v[209:210], -0.5, v[20:21]
	v_add_f64_e32 v[225:226], v[66:67], v[24:25]
	v_add_f64_e64 v[227:228], v[26:27], -v[38:39]
	v_add_f64_e64 v[229:230], v[24:25], -v[34:35]
	;; [unrolled: 1-line block ×3, first 2 shown]
	v_add_f64_e32 v[14:15], v[148:149], v[115:116]
	v_add_f64_e32 v[32:33], v[199:200], v[117:118]
	v_fma_f64 v[115:116], v[219:220], -0.5, v[66:67]
	v_fma_f64 v[117:118], v[221:222], -0.5, v[68:69]
	v_add_f64_e64 v[241:242], v[28:29], -v[42:43]
	v_add_f64_e32 v[24:25], v[156:157], v[132:133]
	v_fma_f64 v[132:133], v[231:232], -0.5, v[93:94]
	v_fma_f64 v[136:137], v[233:234], -0.5, v[95:96]
	v_add_f64_e32 v[26:27], v[177:178], v[16:17]
	v_add_f64_e32 v[18:19], v[211:212], v[36:37]
	;; [unrolled: 1-line block ×6, first 2 shown]
	v_fma_f64 v[42:43], v[83:84], s[10:11], v[64:65]
	v_fma_f64 v[44:45], v[81:82], s[4:5], v[74:75]
	;; [unrolled: 1-line block ×16, first 2 shown]
	v_add_f64_e32 v[22:23], v[158:159], v[130:131]
	v_fma_f64 v[74:75], v[160:161], s[10:11], v[97:98]
	v_fma_f64 v[76:77], v[168:169], s[4:5], v[99:100]
	v_fma_f64 v[81:82], v[160:161], s[4:5], v[97:98]
	v_fma_f64 v[83:84], v[168:169], s[10:11], v[99:100]
	v_add_f64_e32 v[28:29], v[175:176], v[134:135]
	v_fma_f64 v[85:86], v[179:180], s[10:11], v[103:104]
	v_fma_f64 v[87:88], v[181:182], s[4:5], v[105:106]
	v_fma_f64 v[89:90], v[179:180], s[4:5], v[103:104]
	v_fma_f64 v[91:92], v[181:182], s[10:11], v[105:106]
	;; [unrolled: 5-line block ×3, first 2 shown]
	v_fma_f64 v[101:102], v[215:216], s[10:11], v[113:114]
	v_fma_f64 v[103:104], v[217:218], s[4:5], v[20:21]
	;; [unrolled: 1-line block ×4, first 2 shown]
	v_add_f64_e32 v[34:35], v[225:226], v[34:35]
	v_fma_f64 v[109:110], v[227:228], s[10:11], v[115:116]
	v_fma_f64 v[111:112], v[229:230], s[4:5], v[117:118]
	;; [unrolled: 1-line block ×8, first 2 shown]
	v_add3_u32 v20, 0, v119, v246
	v_add3_u32 v21, 0, v163, v247
	;; [unrolled: 1-line block ×4, first 2 shown]
	global_wb scope:SCOPE_SE
	s_barrier_signal -1
	s_barrier_wait -1
	global_inv scope:SCOPE_SE
	ds_store_b128 v245, v[0:3]
	ds_store_b128 v245, v[42:45] offset:48
	ds_store_b128 v245, v[46:49] offset:96
	ds_store_b128 v250, v[4:7]
	ds_store_b128 v250, v[50:53] offset:48
	ds_store_b128 v250, v[54:57] offset:96
	;; [unrolled: 3-line block ×10, first 2 shown]
	global_wb scope:SCOPE_SE
	s_wait_dscnt 0x0
	s_barrier_signal -1
	s_barrier_wait -1
	global_inv scope:SCOPE_SE
	s_clause 0x4
	global_load_b128 v[8:11], v80, s[8:9] offset:96
	global_load_b128 v[4:7], v80, s[8:9] offset:112
	;; [unrolled: 1-line block ×5, first 2 shown]
	v_mul_lo_u16 v12, v127, 57
	s_clause 0x2
	global_load_b128 v[24:27], v80, s[8:9] offset:176
	global_load_b128 v[20:23], v80, s[8:9] offset:192
	;; [unrolled: 1-line block ×3, first 2 shown]
	v_mul_u32_u24_e32 v37, 0xe38f, v126
	v_lshrrev_b16 v131, 9, v12
	v_dual_mov_b32 v169, 0 :: v_dual_add_nc_u32 v132, 0xffffffa6, v162
	v_mul_lo_u16 v127, 0xb7, v127
	s_delay_alu instid0(VALU_DEP_4) | instskip(NEXT) | instid1(VALU_DEP_4)
	v_lshrrev_b32_e32 v133, 19, v37
	v_mul_lo_u16 v12, v131, 9
	s_delay_alu instid0(VALU_DEP_4)
	v_cndmask_b32_e64 v132, v132, v162, s0
	v_mul_u32_u24_e32 v161, 0x5a0, v129
	v_and_b32_e32 v131, 0xffff, v131
	v_mul_u32_u24_e32 v163, 0x5a0, v133
	v_sub_nc_u16 v12, v121, v12
	v_mul_i32_i24_e32 v168, 5, v132
	s_delay_alu instid0(VALU_DEP_4) | instskip(NEXT) | instid1(VALU_DEP_3)
	v_mul_u32_u24_e32 v131, 0x5a0, v131
	v_and_b32_e32 v130, 0xff, v12
	global_load_b128 v[12:15], v80, s[8:9] offset:224
	v_mul_u32_u24_e32 v36, 9, v130
	v_lshlrev_b32_e32 v253, 4, v130
	s_delay_alu instid0(VALU_DEP_2)
	v_lshlrev_b32_e32 v48, 4, v36
	v_mul_lo_u16 v36, v133, 9
	s_clause 0x3
	global_load_b128 v[72:75], v48, s[8:9] offset:96
	global_load_b128 v[68:71], v48, s[8:9] offset:112
	;; [unrolled: 1-line block ×4, first 2 shown]
	v_sub_nc_u16 v36, v120, v36
	s_clause 0x1
	global_load_b128 v[52:55], v48, s[8:9] offset:160
	global_load_b128 v[44:47], v48, s[8:9] offset:176
	v_and_b32_e32 v134, 0xffff, v36
	s_clause 0x1
	global_load_b128 v[40:43], v48, s[8:9] offset:192
	global_load_b128 v[36:39], v48, s[8:9] offset:208
	v_mul_u32_u24_e32 v49, 9, v134
	v_lshlrev_b32_e32 v254, 4, v134
	s_delay_alu instid0(VALU_DEP_2)
	v_lshlrev_b32_e32 v104, 4, v49
	s_clause 0x9
	global_load_b128 v[48:51], v48, s[8:9] offset:224
	global_load_b128 v[60:63], v104, s[8:9] offset:96
	;; [unrolled: 1-line block ×10, first 2 shown]
	ds_load_b128 v[112:115], v174 offset:5184
	ds_load_b128 v[108:111], v174 offset:10368
	;; [unrolled: 1-line block ×22, first 2 shown]
	s_wait_loadcnt_dscnt 0x1a15
	v_mul_f64_e32 v[159:160], v[114:115], v[10:11]
	v_mul_f64_e32 v[10:11], v[112:113], v[10:11]
	s_wait_loadcnt_dscnt 0x1813
	v_mul_f64_e32 v[227:228], v[118:119], v[2:3]
	v_mul_f64_e32 v[229:230], v[116:117], v[2:3]
	;; [unrolled: 3-line block ×4, first 2 shown]
	v_mul_f64_e32 v[223:224], v[110:111], v[6:7]
	v_mul_f64_e32 v[225:226], v[108:109], v[6:7]
	s_wait_loadcnt_dscnt 0x150e
	v_mul_f64_e32 v[237:238], v[153:154], v[26:27]
	v_mul_f64_e32 v[26:27], v[151:152], v[26:27]
	s_wait_loadcnt_dscnt 0x140c
	;; [unrolled: 3-line block ×3, first 2 shown]
	v_mul_f64_e32 v[241:242], v[181:182], v[18:19]
	v_mul_f64_e32 v[18:19], v[179:180], v[18:19]
	v_fma_f64 v[159:160], v[112:113], v[8:9], v[159:160]
	v_fma_f64 v[243:244], v[114:115], v[8:9], -v[10:11]
	v_fma_f64 v[227:228], v[116:117], v[0:1], v[227:228]
	v_fma_f64 v[0:1], v[118:119], v[0:1], -v[229:230]
	s_wait_loadcnt 0x11
	v_mul_f64_e32 v[229:230], v[141:142], v[74:75]
	v_mul_f64_e32 v[74:75], v[139:140], v[74:75]
	v_fma_f64 v[34:35], v[137:138], v[32:33], -v[34:35]
	s_wait_loadcnt_dscnt 0x1003
	v_mul_f64_e32 v[137:138], v[209:210], v[70:71]
	v_mul_f64_e32 v[70:71], v[207:208], v[70:71]
	v_fma_f64 v[143:144], v[143:144], v[28:29], v[233:234]
	v_fma_f64 v[28:29], v[145:146], v[28:29], -v[235:236]
	s_wait_loadcnt 0xf
	v_mul_f64_e32 v[145:146], v[157:158], v[66:67]
	v_mul_f64_e32 v[66:67], v[155:156], v[66:67]
	ds_load_b128 v[6:9], v174 offset:32832
	ds_load_b128 v[112:115], v174 offset:34560
	v_fma_f64 v[223:224], v[108:109], v[4:5], v[223:224]
	v_fma_f64 v[225:226], v[110:111], v[4:5], -v[225:226]
	ds_load_b128 v[2:5], v174 offset:43200
	ds_load_b128 v[108:111], v174 offset:44928
	v_fma_f64 v[135:136], v[135:136], v[32:33], v[231:232]
	s_wait_loadcnt_dscnt 0xe05
	v_mul_f64_e32 v[231:232], v[217:218], v[58:59]
	v_mul_f64_e32 v[58:59], v[215:216], v[58:59]
	v_fma_f64 v[151:152], v[151:152], v[24:25], v[237:238]
	v_fma_f64 v[24:25], v[153:154], v[24:25], -v[26:27]
	s_wait_loadcnt 0xd
	v_mul_f64_e32 v[26:27], v[185:186], v[54:55]
	v_mul_f64_e32 v[54:55], v[183:184], v[54:55]
	v_fma_f64 v[170:171], v[170:171], v[20:21], v[239:240]
	v_fma_f64 v[20:21], v[172:173], v[20:21], -v[22:23]
	s_wait_loadcnt 0xb
	v_mul_f64_e32 v[22:23], v[197:198], v[42:43]
	v_mul_f64_e32 v[42:43], v[195:196], v[42:43]
	v_fma_f64 v[18:19], v[181:182], v[16:17], -v[18:19]
	s_wait_loadcnt 0x9
	v_mul_f64_e32 v[181:182], v[205:206], v[50:51]
	v_mul_f64_e32 v[50:51], v[203:204], v[50:51]
	s_wait_loadcnt 0x8
	v_mul_f64_e32 v[233:234], v[149:150], v[62:63]
	s_wait_dscnt 0x3
	v_mul_f64_e32 v[153:154], v[8:9], v[46:47]
	v_mul_f64_e32 v[46:47], v[6:7], v[46:47]
	;; [unrolled: 1-line block ×3, first 2 shown]
	s_wait_dscnt 0x1
	v_mul_f64_e32 v[172:173], v[4:5], v[38:39]
	v_mul_f64_e32 v[38:39], v[2:3], v[38:39]
	s_wait_loadcnt 0x7
	v_mul_f64_e32 v[235:236], v[213:214], v[78:79]
	v_mul_f64_e32 v[78:79], v[211:212], v[78:79]
	s_wait_loadcnt 0x6
	v_mul_f64_e32 v[237:238], v[177:178], v[82:83]
	v_mul_f64_e32 v[82:83], v[175:176], v[82:83]
	;; [unrolled: 1-line block ×3, first 2 shown]
	v_fma_f64 v[139:140], v[139:140], v[72:73], v[229:230]
	v_fma_f64 v[72:73], v[141:142], v[72:73], -v[74:75]
	s_wait_loadcnt 0x5
	v_mul_f64_e32 v[74:75], v[221:222], v[86:87]
	v_mul_f64_e32 v[86:87], v[219:220], v[86:87]
	v_fma_f64 v[137:138], v[207:208], v[68:69], v[137:138]
	v_fma_f64 v[68:69], v[209:210], v[68:69], -v[70:71]
	s_wait_loadcnt 0x3
	v_mul_f64_e32 v[70:71], v[114:115], v[94:95]
	v_mul_f64_e32 v[94:95], v[112:113], v[94:95]
	v_fma_f64 v[145:146], v[155:156], v[64:65], v[145:146]
	v_fma_f64 v[64:65], v[157:158], v[64:65], -v[66:67]
	s_wait_loadcnt_dscnt 0x100
	v_mul_f64_e32 v[66:67], v[110:111], v[102:103]
	v_mul_f64_e32 v[102:103], v[108:109], v[102:103]
	;; [unrolled: 1-line block ×5, first 2 shown]
	v_fma_f64 v[209:210], v[215:216], v[56:57], v[231:232]
	v_fma_f64 v[56:57], v[217:218], v[56:57], -v[58:59]
	ds_load_b128 v[30:33], v174 offset:50112
	ds_load_b128 v[116:119], v174
	v_fma_f64 v[26:27], v[183:184], v[52:53], v[26:27]
	v_fma_f64 v[52:53], v[185:186], v[52:53], -v[54:55]
	v_fma_f64 v[179:180], v[179:180], v[16:17], v[241:242]
	v_mul_f64_e32 v[141:142], v[193:194], v[90:91]
	v_fma_f64 v[22:23], v[195:196], v[40:41], v[22:23]
	v_fma_f64 v[40:41], v[197:198], v[40:41], -v[42:43]
	v_mul_f64_e32 v[90:91], v[191:192], v[90:91]
	v_add_f64_e32 v[129:130], v[143:144], v[170:171]
	v_lshlrev_b64_e32 v[215:216], 4, v[168:169]
	v_fma_f64 v[42:43], v[147:148], v[60:61], v[233:234]
	v_fma_f64 v[6:7], v[6:7], v[44:45], v[153:154]
	v_fma_f64 v[8:9], v[8:9], v[44:45], -v[46:47]
	v_fma_f64 v[44:45], v[149:150], v[60:61], -v[62:63]
	v_fma_f64 v[2:3], v[2:3], v[36:37], v[172:173]
	v_fma_f64 v[4:5], v[4:5], v[36:37], -v[38:39]
	v_fma_f64 v[36:37], v[203:204], v[48:49], v[181:182]
	;; [unrolled: 2-line block ×3, first 2 shown]
	v_fma_f64 v[48:49], v[213:214], v[76:77], -v[78:79]
	v_fma_f64 v[54:55], v[177:178], v[80:81], -v[82:83]
	s_wait_loadcnt_dscnt 0x1
	v_mul_f64_e32 v[157:158], v[30:31], v[106:107]
	v_fma_f64 v[187:188], v[187:188], v[12:13], v[10:11]
	v_fma_f64 v[58:59], v[219:220], v[84:85], v[74:75]
	v_fma_f64 v[60:61], v[221:222], v[84:85], -v[86:87]
	v_mul_f64_e32 v[155:156], v[32:33], v[106:107]
	v_fma_f64 v[50:51], v[175:176], v[80:81], v[237:238]
	v_fma_f64 v[70:71], v[112:113], v[92:93], v[70:71]
	v_fma_f64 v[76:77], v[114:115], v[92:93], -v[94:95]
	v_add_f64_e32 v[84:85], v[135:136], v[151:152]
	v_add_f64_e64 v[175:176], v[34:35], -v[225:226]
	v_fma_f64 v[66:67], v[108:109], v[100:101], v[66:67]
	v_fma_f64 v[82:83], v[110:111], v[100:101], -v[102:103]
	v_fma_f64 v[189:190], v[189:190], v[12:13], -v[14:15]
	v_fma_f64 v[78:79], v[199:200], v[96:97], v[207:208]
	v_fma_f64 v[80:81], v[201:202], v[96:97], -v[98:99]
	v_add_f64_e32 v[96:97], v[159:160], v[227:228]
	ds_load_b128 v[10:13], v174 offset:1728
	ds_load_b128 v[14:17], v174 offset:3456
	v_add_f64_e32 v[98:99], v[243:244], v[0:1]
	v_add_f64_e64 v[100:101], v[223:224], -v[135:136]
	v_lshrrev_b16 v106, 14, v127
	v_add_f64_e32 v[86:87], v[223:224], v[179:180]
	v_fma_f64 v[62:63], v[191:192], v[88:89], v[141:142]
	v_add_f64_e64 v[102:103], v[179:180], -v[151:152]
	v_add_f64_e64 v[172:173], v[151:152], -v[179:180]
	v_fma_f64 v[74:75], v[193:194], v[88:89], -v[90:91]
	v_add_f64_e32 v[88:89], v[34:35], v[24:25]
	v_add_f64_e32 v[90:91], v[225:226], v[18:19]
	v_add_f64_e64 v[191:192], v[24:25], -v[18:19]
	v_add_f64_e32 v[177:178], v[209:210], v[6:7]
	v_add_f64_e32 v[183:184], v[56:57], v[8:9]
	v_lshlrev_b32_e32 v168, 4, v128
	v_add_f64_e32 v[181:182], v[137:138], v[2:3]
	v_add_f64_e32 v[185:186], v[68:69], v[4:5]
	v_add_f64_e64 v[107:108], v[18:19], -v[24:25]
	v_add_f64_e64 v[109:110], v[227:228], -v[143:144]
	;; [unrolled: 1-line block ×3, first 2 shown]
	v_add_f64_e32 v[133:134], v[28:29], v[20:21]
	v_add_f64_e64 v[207:208], v[28:29], -v[0:1]
	v_fma_f64 v[32:33], v[32:33], v[104:105], -v[157:158]
	v_add_f64_e64 v[157:158], v[135:136], -v[223:224]
	v_add_f64_e32 v[203:204], v[227:228], v[187:188]
	v_add_f64_e64 v[111:112], v[187:188], -v[170:171]
	v_fma_f64 v[30:31], v[30:31], v[104:105], v[155:156]
	v_add_f64_e64 v[104:105], v[225:226], -v[34:35]
	v_add_f64_e32 v[195:196], v[58:59], v[70:71]
	v_add_f64_e32 v[199:200], v[60:61], v[76:77]
	s_wait_dscnt 0x2
	v_add_f64_e32 v[94:95], v[118:119], v[225:226]
	v_add_f64_e64 v[141:142], v[227:228], -v[187:188]
	v_add_f64_e32 v[197:198], v[46:47], v[66:67]
	v_add_f64_e32 v[201:202], v[48:49], v[82:83]
	v_add_f64_e64 v[127:128], v[189:190], -v[20:21]
	v_add_f64_e64 v[149:150], v[0:1], -v[189:190]
	v_add_f64_e32 v[0:1], v[0:1], v[189:190]
	v_add_f64_e64 v[155:156], v[225:226], -v[18:19]
	v_add_f64_e64 v[193:194], v[143:144], -v[227:228]
	;; [unrolled: 1-line block ×10, first 2 shown]
	s_wait_dscnt 0x0
	v_add_f64_e32 v[219:220], v[14:15], v[46:47]
	v_add_f64_e32 v[221:222], v[16:17], v[48:49]
	;; [unrolled: 1-line block ×3, first 2 shown]
	v_add_f64_e64 v[143:144], v[40:41], -v[38:39]
	v_add_f64_e32 v[92:93], v[116:117], v[223:224]
	v_add_f64_e64 v[153:154], v[28:29], -v[20:21]
	v_add_f64_e64 v[205:206], v[170:171], -v[187:188]
	v_add_f64_e32 v[213:214], v[10:11], v[137:138]
	v_add_f64_e32 v[241:242], v[26:27], v[22:23]
	v_fma_f64 v[84:85], v[84:85], -0.5, v[116:117]
	v_fma_f64 v[86:87], v[86:87], -0.5, v[116:117]
	;; [unrolled: 1-line block ×4, first 2 shown]
	v_add_f64_e64 v[117:118], v[26:27], -v[145:146]
	v_fma_f64 v[177:178], v[177:178], -0.5, v[10:11]
	v_fma_f64 v[10:11], v[181:182], -0.5, v[10:11]
	;; [unrolled: 1-line block ×3, first 2 shown]
	v_add_f64_e32 v[183:184], v[145:146], v[36:37]
	v_add_f64_e32 v[28:29], v[98:99], v[28:29]
	v_fma_f64 v[195:196], v[195:196], -0.5, v[14:15]
	v_add_f64_e64 v[98:99], v[46:47], -v[58:59]
	v_add_f64_e32 v[100:101], v[100:101], v[102:103]
	v_add_f64_e64 v[102:103], v[66:67], -v[70:71]
	v_fma_f64 v[14:15], v[197:198], -0.5, v[14:15]
	v_fma_f64 v[197:198], v[199:200], -0.5, v[16:17]
	;; [unrolled: 1-line block ×3, first 2 shown]
	v_add_f64_e64 v[201:202], v[52:53], -v[64:65]
	v_add_f64_e64 v[199:200], v[22:23], -v[36:37]
	v_add_f64_e32 v[217:218], v[12:13], v[68:69]
	v_add_f64_e32 v[245:246], v[52:53], v[40:41]
	;; [unrolled: 1-line block ×4, first 2 shown]
	v_fma_f64 v[12:13], v[185:186], -0.5, v[12:13]
	v_add_f64_e32 v[185:186], v[64:65], v[38:39]
	v_fma_f64 v[129:130], v[129:130], -0.5, v[159:160]
	v_fma_f64 v[159:160], v[203:204], -0.5, v[159:160]
	v_add_f64_e32 v[203:204], v[42:43], v[50:51]
	v_add_f64_e32 v[175:176], v[175:176], v[191:192]
	;; [unrolled: 1-line block ×4, first 2 shown]
	v_add_f64_e64 v[107:108], v[48:49], -v[60:61]
	v_add_f64_e32 v[109:110], v[109:110], v[111:112]
	v_add_f64_e64 v[111:112], v[82:83], -v[76:77]
	v_add_f64_e32 v[113:114], v[113:114], v[127:128]
	v_add_f64_e64 v[127:128], v[50:51], -v[62:63]
	v_fma_f64 v[133:134], v[133:134], -0.5, v[243:244]
	v_fma_f64 v[0:1], v[0:1], -0.5, v[243:244]
	v_add_f64_e64 v[243:244], v[30:31], -v[78:79]
	v_add_f64_e32 v[207:208], v[207:208], v[211:212]
	v_add_f64_e64 v[211:212], v[54:55], -v[74:75]
	v_add_f64_e32 v[225:226], v[225:226], v[227:228]
	;; [unrolled: 2-line block ×3, first 2 shown]
	v_add_f64_e32 v[231:232], v[62:63], v[78:79]
	v_add_f64_e32 v[233:234], v[233:234], v[235:236]
	;; [unrolled: 1-line block ×6, first 2 shown]
	v_fma_f64 v[241:242], v[241:242], -0.5, v[139:140]
	v_fma_f64 v[139:140], v[183:184], -0.5, v[139:140]
	v_add_f64_e64 v[183:184], v[62:63], -v[50:51]
	v_add_f64_e32 v[98:99], v[98:99], v[102:103]
	v_add_f64_e64 v[102:103], v[78:79], -v[30:31]
	v_add_f64_e32 v[143:144], v[201:202], v[143:144]
	v_add_f64_e32 v[201:202], v[54:55], v[32:33]
	;; [unrolled: 1-line block ×5, first 2 shown]
	v_add_f64_e64 v[237:238], v[64:65], -v[52:53]
	v_add_f64_e64 v[239:240], v[38:39], -v[40:41]
	v_fma_f64 v[245:246], v[245:246], -0.5, v[72:73]
	v_add_f64_e64 v[223:224], v[223:224], -v[179:180]
	v_add_f64_e64 v[145:146], v[145:146], -v[36:37]
	v_add_f64_e32 v[172:173], v[172:173], v[26:27]
	v_add_f64_e32 v[217:218], v[217:218], v[56:57]
	v_fma_f64 v[72:73], v[185:186], -0.5, v[72:73]
	v_add_f64_e64 v[26:27], v[26:27], -v[22:23]
	v_add_f64_e32 v[213:214], v[213:214], v[209:210]
	v_add_f64_e32 v[203:204], v[203:204], v[62:63]
	v_add_f64_e64 v[247:248], v[209:210], -v[137:138]
	v_add_f64_e64 v[249:250], v[6:7], -v[2:3]
	;; [unrolled: 1-line block ×4, first 2 shown]
	v_add_f64_e32 v[191:192], v[191:192], v[52:53]
	v_add_f64_e64 v[56:57], v[56:57], -v[8:9]
	v_add_f64_e32 v[219:220], v[219:220], v[58:59]
	v_add_f64_e32 v[221:222], v[221:222], v[60:61]
	;; [unrolled: 1-line block ×3, first 2 shown]
	v_add_f64_e64 v[111:112], v[74:75], -v[54:55]
	v_add_f64_e32 v[127:128], v[127:128], v[243:244]
	v_add_f64_e64 v[243:244], v[80:81], -v[32:33]
	v_add_f64_e64 v[209:210], v[209:210], -v[6:7]
	;; [unrolled: 1-line block ×3, first 2 shown]
	v_add_f64_e32 v[211:212], v[211:212], v[227:228]
	v_fma_f64 v[227:228], v[231:232], -0.5, v[42:43]
	v_fma_f64 v[231:232], v[235:236], -0.5, v[44:45]
	v_add_f64_e64 v[34:35], v[34:35], -v[24:25]
	v_add_f64_e64 v[62:63], v[62:63], -v[78:79]
	v_add_f64_e32 v[24:25], v[94:95], v[24:25]
	v_add_f64_e32 v[20:21], v[28:29], v[20:21]
	v_fma_f64 v[28:29], v[141:142], s[14:15], v[133:134]
	v_add_f64_e32 v[205:206], v[205:206], v[74:75]
	v_fma_f64 v[44:45], v[201:202], -0.5, v[44:45]
	v_add_f64_e64 v[74:75], v[74:75], -v[80:81]
	v_fma_f64 v[42:43], v[199:200], -0.5, v[42:43]
	v_add_f64_e32 v[102:103], v[183:184], v[102:103]
	v_add_f64_e32 v[94:95], v[96:97], v[170:171]
	v_fma_f64 v[183:184], v[147:148], s[22:23], v[0:1]
	v_fma_f64 v[0:1], v[147:148], s[14:15], v[0:1]
	v_add_f64_e64 v[64:65], v[64:65], -v[38:39]
	v_add_f64_e64 v[68:69], v[68:69], -v[4:5]
	v_add_f64_e32 v[92:93], v[92:93], v[151:152]
	v_fma_f64 v[133:134], v[141:142], s[22:23], v[133:134]
	v_add_f64_e32 v[237:238], v[237:238], v[239:240]
	v_add_f64_e64 v[239:240], v[58:59], -v[46:47]
	v_add_f64_e64 v[185:186], v[70:71], -v[66:67]
	;; [unrolled: 1-line block ×3, first 2 shown]
	v_fma_f64 v[151:152], v[155:156], s[22:23], v[84:85]
	v_fma_f64 v[170:171], v[223:224], s[14:15], v[88:89]
	;; [unrolled: 1-line block ×4, first 2 shown]
	v_add_f64_e32 v[8:9], v[217:218], v[8:9]
	v_add_f64_e32 v[22:23], v[172:173], v[22:23]
	v_fma_f64 v[172:173], v[145:146], s[14:15], v[245:246]
	v_add_f64_e64 v[52:53], v[52:53], -v[40:41]
	v_add_f64_e32 v[6:7], v[213:214], v[6:7]
	v_add_f64_e32 v[78:79], v[203:204], v[78:79]
	v_fma_f64 v[213:214], v[26:27], s[22:23], v[72:73]
	v_add_f64_e32 v[247:248], v[247:248], v[249:250]
	v_add_f64_e64 v[249:250], v[60:61], -v[48:49]
	v_add_f64_e32 v[115:116], v[251:252], v[115:116]
	v_add_f64_e64 v[251:252], v[76:77], -v[82:83]
	v_add_f64_e64 v[60:61], v[60:61], -v[76:77]
	;; [unrolled: 1-line block ×3, first 2 shown]
	v_add_f64_e32 v[40:41], v[191:192], v[40:41]
	v_add_f64_e32 v[70:71], v[219:220], v[70:71]
	;; [unrolled: 1-line block ×3, first 2 shown]
	v_fma_f64 v[219:220], v[56:57], s[14:15], v[10:11]
	v_fma_f64 v[10:11], v[56:57], s[22:23], v[10:11]
	;; [unrolled: 1-line block ×3, first 2 shown]
	v_add_f64_e64 v[137:138], v[137:138], -v[2:3]
	v_add_f64_e32 v[111:112], v[111:112], v[243:244]
	v_fma_f64 v[96:97], v[149:150], s[22:23], v[129:130]
	v_fma_f64 v[221:222], v[209:210], s[22:23], v[12:13]
	;; [unrolled: 1-line block ×4, first 2 shown]
	v_add_f64_e64 v[54:55], v[54:55], -v[32:33]
	v_fma_f64 v[245:246], v[50:51], s[14:15], v[231:232]
	v_add_f64_e32 v[18:19], v[24:25], v[18:19]
	v_fma_f64 v[24:25], v[62:63], s[22:23], v[44:45]
	v_fma_f64 v[44:45], v[62:63], s[14:15], v[44:45]
	v_fma_f64 v[231:232], v[50:51], s[22:23], v[231:232]
	v_fma_f64 v[28:29], v[147:148], s[12:13], v[28:29]
	v_fma_f64 v[199:200], v[153:154], s[14:15], v[159:160]
	v_fma_f64 v[129:130], v[149:150], s[14:15], v[129:130]
	v_add_f64_e32 v[94:95], v[94:95], v[187:188]
	v_fma_f64 v[187:188], v[74:75], s[14:15], v[42:43]
	v_fma_f64 v[42:43], v[74:75], s[22:23], v[42:43]
	;; [unrolled: 1-line block ×6, first 2 shown]
	v_add_f64_e32 v[80:81], v[205:206], v[80:81]
	v_fma_f64 v[0:1], v[141:142], s[20:21], v[0:1]
	v_fma_f64 v[191:192], v[64:65], s[22:23], v[241:242]
	;; [unrolled: 1-line block ×3, first 2 shown]
	v_add_f64_e32 v[92:93], v[92:93], v[179:180]
	v_fma_f64 v[133:134], v[147:148], s[20:21], v[133:134]
	v_add_f64_e32 v[185:186], v[239:240], v[185:186]
	v_fma_f64 v[239:240], v[135:136], s[22:23], v[90:91]
	v_fma_f64 v[90:91], v[135:136], s[14:15], v[90:91]
	;; [unrolled: 1-line block ×6, first 2 shown]
	v_add_f64_e32 v[135:136], v[8:9], v[4:5]
	v_fma_f64 v[8:9], v[26:27], s[12:13], v[172:173]
	v_fma_f64 v[217:218], v[52:53], s[14:15], v[139:140]
	v_add_f64_e32 v[30:31], v[78:79], v[30:31]
	v_fma_f64 v[78:79], v[145:146], s[12:13], v[213:214]
	v_add_f64_e64 v[48:49], v[48:49], -v[82:83]
	v_fma_f64 v[139:140], v[52:53], s[22:23], v[139:140]
	v_fma_f64 v[177:178], v[68:69], s[14:15], v[177:178]
	v_add_f64_e32 v[22:23], v[22:23], v[36:37]
	v_add_f64_e32 v[36:37], v[40:41], v[38:39]
	v_add_f64_e32 v[40:41], v[76:77], v[82:83]
	v_fma_f64 v[82:83], v[68:69], s[20:21], v[219:220]
	v_fma_f64 v[68:69], v[68:69], s[12:13], v[10:11]
	;; [unrolled: 1-line block ×10, first 2 shown]
	v_add_f64_e64 v[46:47], v[46:47], -v[66:67]
	v_add_f64_e32 v[201:202], v[249:250], v[251:252]
	v_fma_f64 v[249:250], v[54:55], s[22:23], v[227:228]
	v_fma_f64 v[227:228], v[54:55], s[14:15], v[227:228]
	;; [unrolled: 1-line block ×6, first 2 shown]
	v_add_f64_e32 v[20:21], v[20:21], v[189:190]
	v_fma_f64 v[189:190], v[60:61], s[14:15], v[14:15]
	v_fma_f64 v[14:15], v[60:61], s[22:23], v[14:15]
	;; [unrolled: 1-line block ×13, first 2 shown]
	v_add_f64_e32 v[129:130], v[6:7], v[2:3]
	v_add_f64_e32 v[38:39], v[70:71], v[66:67]
	;; [unrolled: 1-line block ×3, first 2 shown]
	v_fma_f64 v[159:160], v[207:208], s[16:17], v[0:1]
	v_fma_f64 v[66:67], v[52:53], s[20:21], v[191:192]
	;; [unrolled: 1-line block ×3, first 2 shown]
	v_add_f64_e32 v[0:1], v[92:93], v[94:95]
	v_add_f64_e64 v[4:5], v[92:93], -v[94:95]
	v_fma_f64 v[92:93], v[113:114], s[16:17], v[133:134]
	v_fma_f64 v[113:114], v[237:238], s[16:17], v[8:9]
	;; [unrolled: 1-line block ×23, first 2 shown]
	v_add_f64_e32 v[10:11], v[135:136], v[36:37]
	v_add_f64_e64 v[14:15], v[135:136], -v[36:37]
	v_mul_f64_e32 v[36:37], s[20:21], v[28:29]
	v_mul_f64_e32 v[28:29], s[18:19], v[28:29]
	v_fma_f64 v[239:240], v[223:224], s[12:13], v[239:240]
	v_fma_f64 v[133:134], v[104:105], s[16:17], v[170:171]
	;; [unrolled: 1-line block ×4, first 2 shown]
	v_mul_f64_e32 v[104:105], s[22:23], v[54:55]
	v_mul_f64_e32 v[54:55], s[16:17], v[54:55]
	v_fma_f64 v[90:91], v[223:224], s[20:21], v[90:91]
	v_fma_f64 v[155:156], v[46:47], s[12:13], v[155:156]
	;; [unrolled: 1-line block ×3, first 2 shown]
	v_add_f64_e32 v[2:3], v[18:19], v[20:21]
	v_add_f64_e64 v[6:7], v[18:19], -v[20:21]
	v_fma_f64 v[141:142], v[193:194], s[16:17], v[141:142]
	v_add_f64_e32 v[8:9], v[129:130], v[22:23]
	v_add_f64_e64 v[12:13], v[129:130], -v[22:23]
	v_add_f64_e32 v[16:17], v[38:39], v[30:31]
	v_add_f64_e32 v[18:19], v[40:41], v[32:33]
	v_add_f64_e64 v[20:21], v[38:39], -v[30:31]
	v_add_f64_e64 v[22:23], v[40:41], -v[32:33]
	v_mul_f64_e32 v[30:31], s[22:23], v[159:160]
	s_wait_alu 0xfffe
	v_mul_f64_e32 v[32:33], s[24:25], v[159:160]
	v_fma_f64 v[26:27], v[56:57], s[12:13], v[177:178]
	v_fma_f64 v[56:57], v[209:210], s[20:21], v[181:182]
	;; [unrolled: 1-line block ×5, first 2 shown]
	v_mul_f64_e32 v[40:41], s[20:21], v[92:93]
	v_mul_f64_e32 v[70:71], s[26:27], v[92:93]
	v_fma_f64 v[76:77], v[209:210], s[12:13], v[205:206]
	v_mul_f64_e32 v[92:93], s[20:21], v[113:114]
	v_mul_f64_e32 v[109:110], s[18:19], v[113:114]
	v_fma_f64 v[80:81], v[117:118], s[16:17], v[80:81]
	;; [unrolled: 3-line block ×4, first 2 shown]
	v_fma_f64 v[60:61], v[60:61], s[12:13], v[195:196]
	v_fma_f64 v[52:53], v[233:234], s[16:17], v[52:53]
	v_fma_f64 v[117:118], v[102:103], s[16:17], v[153:154]
	v_fma_f64 v[42:43], v[102:103], s[16:17], v[42:43]
	v_mul_f64_e32 v[102:103], s[20:21], v[34:35]
	v_mul_f64_e32 v[34:35], s[26:27], v[34:35]
	v_fma_f64 v[149:150], v[58:59], s[12:13], v[179:180]
	v_fma_f64 v[58:59], v[58:59], s[20:21], v[197:198]
	;; [unrolled: 1-line block ×4, first 2 shown]
	v_mul_f64_e32 v[127:128], s[20:21], v[72:73]
	v_mul_f64_e32 v[72:73], s[18:19], v[72:73]
	;; [unrolled: 1-line block ×8, first 2 shown]
	v_fma_f64 v[36:37], v[94:95], s[18:19], v[36:37]
	v_fma_f64 v[94:95], v[94:95], s[12:13], v[28:29]
	;; [unrolled: 1-line block ×43, first 2 shown]
	v_add_f64_e32 v[24:25], v[96:97], v[36:37]
	v_add_f64_e32 v[26:27], v[133:134], v[94:95]
	;; [unrolled: 1-line block ×4, first 2 shown]
	v_add_f64_e64 v[28:29], v[96:97], -v[36:37]
	v_add_f64_e64 v[30:31], v[133:134], -v[94:95]
	v_add_f64_e32 v[40:41], v[86:87], v[68:69]
	v_add_f64_e32 v[42:43], v[90:91], v[137:138]
	v_add_f64_e64 v[36:37], v[170:171], -v[104:105]
	v_add_f64_e32 v[48:49], v[100:101], v[56:57]
	v_add_f64_e32 v[50:51], v[84:85], v[70:71]
	v_add_f64_e64 v[38:39], v[172:173], -v[54:55]
	v_add_f64_e64 v[44:45], v[86:87], -v[68:69]
	;; [unrolled: 1-line block ×5, first 2 shown]
	v_add_f64_e32 v[56:57], v[66:67], v[88:89]
	v_add_f64_e32 v[58:59], v[76:77], v[92:93]
	v_add_f64_e64 v[60:61], v[66:67], -v[88:89]
	v_add_f64_e32 v[64:65], v[82:83], v[111:112]
	v_add_f64_e32 v[66:67], v[147:148], v[78:79]
	v_add_f64_e32 v[72:73], v[151:152], v[80:81]
	v_add_f64_e32 v[74:75], v[115:116], v[129:130]
	v_add_f64_e64 v[62:63], v[76:77], -v[92:93]
	v_add_f64_e64 v[68:69], v[82:83], -v[111:112]
	v_add_f64_e64 v[76:77], v[151:152], -v[80:81]
	v_add_f64_e32 v[80:81], v[141:142], v[98:99]
	v_add_f64_e32 v[82:83], v[157:158], v[102:103]
	v_add_f64_e64 v[70:71], v[147:148], -v[78:79]
	v_add_f64_e64 v[78:79], v[115:116], -v[129:130]
	;; [unrolled: 1-line block ×4, first 2 shown]
	v_add_f64_e32 v[88:89], v[145:146], v[107:108]
	v_add_f64_e32 v[90:91], v[149:150], v[113:114]
	v_add_f64_e32 v[96:97], v[109:110], v[127:128]
	v_add_f64_e32 v[98:99], v[155:156], v[117:118]
	v_add_f64_e64 v[92:93], v[145:146], -v[107:108]
	v_add_f64_e64 v[100:101], v[109:110], -v[127:128]
	v_add_f64_e32 v[107:108], v[159:160], v[139:140]
	v_add_f64_e32 v[109:110], v[175:176], v[143:144]
	v_add_f64_e64 v[102:103], v[155:156], -v[117:118]
	v_add_f64_e32 v[115:116], v[135:136], v[153:154]
	v_add_f64_e32 v[117:118], v[177:178], v[179:180]
	v_add_f64_e64 v[94:95], v[149:150], -v[113:114]
	v_add_f64_e64 v[111:112], v[159:160], -v[139:140]
	;; [unrolled: 1-line block ×5, first 2 shown]
	v_add_co_u32 v133, s0, s8, v215
	s_wait_alu 0xf1ff
	v_add_co_ci_u32_e64 v134, s0, s9, v216, s0
	v_add3_u32 v104, 0, v161, v168
	v_add3_u32 v105, 0, v131, v253
	;; [unrolled: 1-line block ×3, first 2 shown]
	global_wb scope:SCOPE_SE
	s_barrier_signal -1
	s_barrier_wait -1
	global_inv scope:SCOPE_SE
	ds_store_b128 v104, v[0:3]
	ds_store_b128 v104, v[24:27] offset:144
	ds_store_b128 v104, v[32:35] offset:288
	ds_store_b128 v104, v[40:43] offset:432
	ds_store_b128 v104, v[48:51] offset:576
	ds_store_b128 v104, v[4:7] offset:720
	ds_store_b128 v104, v[28:31] offset:864
	ds_store_b128 v104, v[36:39] offset:1008
	ds_store_b128 v104, v[44:47] offset:1152
	ds_store_b128 v104, v[52:55] offset:1296
	ds_store_b128 v105, v[8:11]
	ds_store_b128 v105, v[56:59] offset:144
	ds_store_b128 v105, v[64:67] offset:288
	ds_store_b128 v105, v[72:75] offset:432
	ds_store_b128 v105, v[80:83] offset:576
	ds_store_b128 v105, v[12:15] offset:720
	ds_store_b128 v105, v[60:63] offset:864
	ds_store_b128 v105, v[68:71] offset:1008
	ds_store_b128 v105, v[76:79] offset:1152
	ds_store_b128 v105, v[84:87] offset:1296
	;; [unrolled: 10-line block ×3, first 2 shown]
	global_wb scope:SCOPE_SE
	s_wait_dscnt 0x0
	s_barrier_signal -1
	s_barrier_wait -1
	global_inv scope:SCOPE_SE
	s_clause 0x1
	global_load_b128 v[0:3], v[133:134], off offset:1392
	global_load_b128 v[12:15], v[133:134], off offset:1408
	v_mul_lo_u16 v5, 0x5a, v106
	v_mul_u32_u24_e32 v4, 0x2d83, v126
	global_load_b128 v[8:11], v[133:134], off offset:1424
	v_mul_u32_u24_e32 v18, 0x2d83, v125
	global_load_b128 v[20:23], v[133:134], off offset:1456
	v_sub_nc_u16 v5, v121, v5
	v_lshrrev_b32_e32 v105, 20, v4
	v_mul_u32_u24_e32 v25, 0x2d83, v124
	v_lshrrev_b32_e32 v108, 20, v18
	v_cmp_lt_u32_e64 s0, 0x59, v162
	v_and_b32_e32 v104, 0xff, v5
	global_load_b128 v[4:7], v[133:134], off offset:1440
	v_mul_lo_u16 v16, 0x5a, v105
	v_mul_lo_u16 v26, 0x5a, v108
	v_lshrrev_b32_e32 v111, 20, v25
	v_mul_u32_u24_e32 v17, 5, v104
	s_wait_alu 0xf1ff
	v_cndmask_b32_e64 v112, 0, 0x21c0, s0
	v_sub_nc_u16 v16, v120, v16
	v_sub_nc_u16 v25, v122, v26
	v_lshlrev_b32_e32 v118, 4, v132
	v_lshlrev_b32_e32 v24, 4, v17
	v_and_b32_e32 v122, 0xffff, v106
	v_and_b32_e32 v107, 0xffff, v16
	;; [unrolled: 1-line block ×3, first 2 shown]
	v_add3_u32 v112, 0, v112, v118
	s_clause 0x3
	global_load_b128 v[16:19], v24, s[8:9] offset:1392
	global_load_b128 v[76:79], v24, s[8:9] offset:1408
	;; [unrolled: 1-line block ×4, first 2 shown]
	v_mul_u32_u24_e32 v27, 5, v107
	global_load_b128 v[64:67], v24, s[8:9] offset:1456
	v_mul_u32_u24_e32 v25, 5, v109
	v_mul_u32_u24_e32 v106, 0x21c0, v111
	;; [unrolled: 1-line block ×3, first 2 shown]
	v_lshlrev_b32_e32 v26, 4, v27
	v_mul_u32_u24_e32 v105, 0x21c0, v108
	v_lshlrev_b32_e32 v36, 4, v25
	v_lshlrev_b32_e32 v168, 4, v107
	v_mul_u32_u24_e32 v113, 5, v162
	global_load_b128 v[60:63], v26, s[8:9] offset:1392
	v_mul_lo_u16 v24, 0x5a, v111
	s_clause 0x3
	global_load_b128 v[48:51], v26, s[8:9] offset:1408
	global_load_b128 v[44:47], v26, s[8:9] offset:1424
	;; [unrolled: 1-line block ×4, first 2 shown]
	v_sub_nc_u16 v24, v123, v24
	s_clause 0x1
	global_load_b128 v[56:59], v36, s[8:9] offset:1392
	global_load_b128 v[32:35], v36, s[8:9] offset:1408
	v_mul_u32_u24_e32 v111, 0x21c0, v122
	v_lshlrev_b32_e32 v113, 4, v113
	v_lshlrev_b32_e32 v104, 4, v104
	v_and_b32_e32 v110, 0xffff, v24
	s_clause 0x1
	global_load_b128 v[28:31], v36, s[8:9] offset:1424
	global_load_b128 v[24:27], v36, s[8:9] offset:1440
	v_add3_u32 v104, 0, v111, v104
	v_mul_u32_u24_e32 v37, 5, v110
	v_add3_u32 v111, 0, v163, v168
	s_delay_alu instid0(VALU_DEP_2)
	v_lshlrev_b32_e32 v96, 4, v37
	s_clause 0x5
	global_load_b128 v[36:39], v36, s[8:9] offset:1456
	global_load_b128 v[80:83], v96, s[8:9] offset:1392
	;; [unrolled: 1-line block ×6, first 2 shown]
	ds_load_b128 v[100:103], v174 offset:8640
	ds_load_b128 v[114:117], v174 offset:17280
	;; [unrolled: 1-line block ×25, first 2 shown]
	ds_load_b128 v[219:222], v174
	s_wait_loadcnt_dscnt 0x1819
	v_mul_f64_e32 v[223:224], v[102:103], v[2:3]
	v_mul_f64_e32 v[2:3], v[100:101], v[2:3]
	s_wait_loadcnt_dscnt 0x1718
	v_mul_f64_e32 v[107:108], v[116:117], v[14:15]
	v_mul_f64_e32 v[14:15], v[114:115], v[14:15]
	s_wait_loadcnt_dscnt 0x1617
	v_mul_f64_e32 v[225:226], v[120:121], v[10:11]
	v_mul_f64_e32 v[10:11], v[118:119], v[10:11]
	s_wait_loadcnt_dscnt 0x1513
	v_mul_f64_e32 v[229:230], v[136:137], v[22:23]
	v_mul_f64_e32 v[22:23], v[134:135], v[22:23]
	s_wait_loadcnt 0x14
	v_mul_f64_e32 v[227:228], v[124:125], v[6:7]
	v_mul_f64_e32 v[6:7], v[122:123], v[6:7]
	s_wait_loadcnt 0x13
	v_mul_f64_e32 v[231:232], v[128:129], v[18:19]
	v_mul_f64_e32 v[18:19], v[126:127], v[18:19]
	s_wait_loadcnt_dscnt 0x120f
	v_mul_f64_e32 v[233:234], v[152:153], v[78:79]
	v_mul_f64_e32 v[78:79], v[150:151], v[78:79]
	s_wait_loadcnt 0x11
	v_mul_f64_e32 v[235:236], v[140:141], v[74:75]
	v_mul_f64_e32 v[74:75], v[138:139], v[74:75]
	v_fma_f64 v[100:101], v[100:101], v[0:1], v[223:224]
	v_fma_f64 v[102:103], v[102:103], v[0:1], -v[2:3]
	s_wait_loadcnt_dscnt 0x100d
	v_mul_f64_e32 v[0:1], v[160:161], v[70:71]
	v_mul_f64_e32 v[2:3], v[158:159], v[70:71]
	s_wait_loadcnt 0xf
	v_mul_f64_e32 v[70:71], v[148:149], v[66:67]
	v_mul_f64_e32 v[66:67], v[146:147], v[66:67]
	v_fma_f64 v[107:108], v[114:115], v[12:13], v[107:108]
	v_fma_f64 v[114:115], v[116:117], v[12:13], -v[14:15]
	;; [unrolled: 8-line block ×3, first 2 shown]
	s_wait_loadcnt_dscnt 0xc09
	v_mul_f64_e32 v[120:121], v[185:186], v[46:47]
	v_mul_f64_e32 v[46:47], v[183:184], v[46:47]
	s_wait_loadcnt 0xb
	v_mul_f64_e32 v[223:224], v[172:173], v[42:43]
	v_mul_f64_e32 v[42:43], v[170:171], v[42:43]
	s_wait_loadcnt_dscnt 0xa07
	v_mul_f64_e32 v[225:226], v[193:194], v[54:55]
	v_mul_f64_e32 v[54:55], v[191:192], v[54:55]
	v_fma_f64 v[134:135], v[134:135], v[20:21], v[229:230]
	v_fma_f64 v[20:21], v[136:137], v[20:21], -v[22:23]
	s_wait_loadcnt_dscnt 0x805
	v_mul_f64_e32 v[22:23], v[201:202], v[34:35]
	v_mul_f64_e32 v[34:35], v[199:200], v[34:35]
	s_wait_loadcnt 0x7
	v_mul_f64_e32 v[136:137], v[189:190], v[30:31]
	v_mul_f64_e32 v[30:31], v[187:188], v[30:31]
	v_fma_f64 v[122:123], v[122:123], v[4:5], v[227:228]
	v_fma_f64 v[126:127], v[126:127], v[16:17], v[231:232]
	v_fma_f64 v[16:17], v[128:129], v[16:17], -v[18:19]
	s_wait_loadcnt 0x5
	v_mul_f64_e32 v[128:129], v[197:198], v[38:39]
	v_mul_f64_e32 v[38:39], v[195:196], v[38:39]
	;; [unrolled: 1-line block ×4, first 2 shown]
	s_wait_dscnt 0x3
	v_mul_f64_e32 v[18:19], v[209:210], v[26:27]
	v_mul_f64_e32 v[26:27], v[207:208], v[26:27]
	v_fma_f64 v[150:151], v[150:151], v[76:77], v[233:234]
	v_fma_f64 v[76:77], v[152:153], v[76:77], -v[78:79]
	s_wait_loadcnt 0x4
	v_mul_f64_e32 v[78:79], v[132:133], v[82:83]
	s_wait_loadcnt 0x3
	v_mul_f64_e32 v[152:153], v[205:206], v[86:87]
	v_mul_f64_e32 v[86:87], v[203:204], v[86:87]
	v_fma_f64 v[138:139], v[138:139], v[72:73], v[235:236]
	v_fma_f64 v[72:73], v[140:141], v[72:73], -v[74:75]
	s_wait_loadcnt 0x2
	v_mul_f64_e32 v[74:75], v[144:145], v[90:91]
	v_mul_f64_e32 v[90:91], v[142:143], v[90:91]
	v_fma_f64 v[158:159], v[158:159], v[68:69], v[0:1]
	v_fma_f64 v[68:69], v[160:161], v[68:69], -v[2:3]
	s_wait_loadcnt_dscnt 0x1
	v_mul_f64_e32 v[160:161], v[217:218], v[98:99]
	v_mul_f64_e32 v[98:99], v[215:216], v[98:99]
	v_fma_f64 v[70:71], v[146:147], v[64:65], v[70:71]
	v_fma_f64 v[64:65], v[148:149], v[64:65], -v[66:67]
	v_fma_f64 v[62:63], v[154:155], v[48:49], v[62:63]
	v_fma_f64 v[48:49], v[156:157], v[48:49], -v[50:51]
	;; [unrolled: 2-line block ×5, first 2 shown]
	v_fma_f64 v[124:125], v[124:125], v[4:5], -v[6:7]
	v_mul_f64_e32 v[82:83], v[130:131], v[82:83]
	v_fma_f64 v[22:23], v[199:200], v[32:33], v[22:23]
	v_fma_f64 v[32:33], v[201:202], v[32:33], -v[34:35]
	v_fma_f64 v[34:35], v[187:188], v[28:29], v[136:137]
	v_fma_f64 v[28:29], v[189:190], v[28:29], -v[30:31]
	v_mul_f64_e32 v[140:141], v[213:214], v[94:95]
	v_mul_f64_e32 v[94:95], v[211:212], v[94:95]
	v_fma_f64 v[66:67], v[175:176], v[60:61], v[12:13]
	v_fma_f64 v[60:61], v[177:178], v[60:61], -v[14:15]
	v_fma_f64 v[30:31], v[197:198], v[36:37], -v[38:39]
	v_fma_f64 v[54:55], v[179:180], v[56:57], v[227:228]
	v_fma_f64 v[56:57], v[181:182], v[56:57], -v[58:59]
	v_fma_f64 v[18:19], v[207:208], v[24:25], v[18:19]
	;; [unrolled: 2-line block ×3, first 2 shown]
	v_add_f64_e32 v[128:129], v[118:119], v[20:21]
	v_fma_f64 v[36:37], v[130:131], v[80:81], v[78:79]
	v_fma_f64 v[58:59], v[203:204], v[84:85], v[152:153]
	v_fma_f64 v[78:79], v[205:206], v[84:85], -v[86:87]
	ds_load_b128 v[0:3], v174 offset:1728
	ds_load_b128 v[4:7], v174 offset:3456
	ds_load_b128 v[8:11], v174 offset:5184
	ds_load_b128 v[12:15], v174 offset:6912
	v_fma_f64 v[74:75], v[142:143], v[88:89], v[74:75]
	v_fma_f64 v[84:85], v[144:145], v[88:89], -v[90:91]
	v_lshlrev_b32_e32 v229, 4, v109
	v_lshlrev_b32_e32 v230, 4, v110
	v_fma_f64 v[86:87], v[215:216], v[96:97], v[160:161]
	v_fma_f64 v[88:89], v[217:218], v[96:97], -v[98:99]
	v_add_f64_e32 v[90:91], v[107:108], v[122:123]
	v_add_f64_e32 v[146:147], v[72:73], v[64:65]
	s_wait_dscnt 0x4
	v_add_f64_e32 v[96:97], v[221:222], v[114:115]
	v_add_f64_e32 v[98:99], v[100:101], v[116:117]
	;; [unrolled: 1-line block ×4, first 2 shown]
	v_add_f64_e64 v[116:117], v[116:117], -v[134:135]
	v_add_f64_e32 v[144:145], v[16:17], v[72:73]
	v_add_f64_e32 v[142:143], v[126:127], v[138:139]
	;; [unrolled: 1-line block ×4, first 2 shown]
	v_fma_f64 v[38:39], v[132:133], v[80:81], -v[82:83]
	s_wait_dscnt 0x3
	v_add_f64_e32 v[136:137], v[0:1], v[150:151]
	s_wait_dscnt 0x1
	v_add_f64_e32 v[181:182], v[10:11], v[32:33]
	v_add_f64_e32 v[154:155], v[4:5], v[62:63]
	v_add_f64_e64 v[138:139], v[138:139], -v[70:71]
	v_fma_f64 v[80:81], v[211:212], v[92:93], v[140:141]
	v_fma_f64 v[82:83], v[213:214], v[92:93], -v[94:95]
	v_add_f64_e32 v[92:93], v[114:115], v[124:125]
	v_add_f64_e32 v[94:95], v[219:220], v[107:108]
	;; [unrolled: 1-line block ×8, first 2 shown]
	v_fma_f64 v[102:103], v[128:129], -0.5, v[102:103]
	v_add_f64_e32 v[205:206], v[50:51], v[42:43]
	v_add_f64_e64 v[50:51], v[50:51], -v[42:43]
	v_add_f64_e32 v[185:186], v[56:57], v[28:29]
	v_add_f64_e32 v[128:129], v[34:35], v[26:27]
	v_add_f64_e64 v[34:35], v[34:35], -v[26:27]
	v_add_f64_e32 v[179:180], v[8:9], v[22:23]
	v_add_f64_e64 v[114:115], v[114:115], -v[124:125]
	v_add_f64_e64 v[107:108], v[107:108], -v[122:123]
	;; [unrolled: 1-line block ×3, first 2 shown]
	v_add_f64_e32 v[130:131], v[150:151], v[158:159]
	v_add_f64_e32 v[203:204], v[84:85], v[88:89]
	;; [unrolled: 1-line block ×3, first 2 shown]
	v_fma_f64 v[16:17], v[146:147], -0.5, v[16:17]
	v_add_f64_e32 v[148:149], v[62:63], v[46:47]
	v_add_f64_e32 v[152:153], v[48:49], v[40:41]
	;; [unrolled: 1-line block ×4, first 2 shown]
	s_wait_dscnt 0x0
	v_add_f64_e32 v[195:196], v[14:15], v[78:79]
	v_add_f64_e32 v[197:198], v[36:37], v[74:75]
	v_add_f64_e64 v[207:208], v[32:33], -v[24:25]
	v_fma_f64 v[60:61], v[175:176], -0.5, v[60:61]
	v_add_f64_e64 v[209:210], v[22:23], -v[18:19]
	v_add_f64_e32 v[199:200], v[38:39], v[84:85]
	v_add_f64_e64 v[32:33], v[28:29], -v[30:31]
	v_add_f64_e32 v[22:23], v[74:75], v[86:87]
	;; [unrolled: 2-line block ×4, first 2 shown]
	v_add_f64_e64 v[74:75], v[78:79], -v[82:83]
	v_add_f64_e64 v[78:79], v[84:85], -v[88:89]
	v_fma_f64 v[56:57], v[191:192], -0.5, v[56:57]
	v_fma_f64 v[84:85], v[90:91], -0.5, v[219:220]
	;; [unrolled: 1-line block ×3, first 2 shown]
	v_add_f64_e32 v[92:93], v[94:95], v[122:123]
	v_add_f64_e32 v[94:95], v[96:97], v[124:125]
	;; [unrolled: 1-line block ×3, first 2 shown]
	v_fma_f64 v[98:99], v[120:121], -0.5, v[100:101]
	v_add_f64_e64 v[72:73], v[72:73], -v[64:65]
	v_add_f64_e32 v[68:69], v[140:141], v[68:69]
	v_add_f64_e32 v[64:65], v[144:145], v[64:65]
	v_fma_f64 v[134:135], v[116:117], s[4:5], v[102:103]
	v_add_f64_e32 v[187:188], v[58:59], v[80:81]
	v_add_f64_e32 v[193:194], v[12:13], v[58:59]
	;; [unrolled: 1-line block ×5, first 2 shown]
	v_fma_f64 v[24:25], v[116:117], s[10:11], v[102:103]
	v_fma_f64 v[38:39], v[203:204], -0.5, v[38:39]
	v_add_f64_e64 v[62:63], v[62:63], -v[46:47]
	v_add_f64_e32 v[46:47], v[154:155], v[46:47]
	v_add_f64_e32 v[42:43], v[160:161], v[42:43]
	;; [unrolled: 1-line block ×3, first 2 shown]
	v_fma_f64 v[26:27], v[201:202], -0.5, v[126:127]
	v_fma_f64 v[116:117], v[138:139], s[4:5], v[16:17]
	v_add_f64_e64 v[48:49], v[48:49], -v[40:41]
	v_add_f64_e64 v[44:45], v[44:45], -v[52:53]
	v_add_f64_e32 v[40:41], v[156:157], v[40:41]
	v_add_f64_e32 v[52:53], v[170:171], v[52:53]
	v_fma_f64 v[138:139], v[138:139], s[10:11], v[16:17]
	v_fma_f64 v[66:67], v[205:206], -0.5, v[66:67]
	v_fma_f64 v[144:145], v[50:51], s[4:5], v[60:61]
	v_fma_f64 v[50:51], v[50:51], s[10:11], v[60:61]
	v_fma_f64 v[54:55], v[128:129], -0.5, v[54:55]
	v_add_f64_e32 v[136:137], v[179:180], v[18:19]
	v_fma_f64 v[100:101], v[130:131], -0.5, v[0:1]
	v_fma_f64 v[109:110], v[132:133], -0.5, v[2:3]
	v_fma_f64 v[122:123], v[148:149], -0.5, v[4:5]
	v_fma_f64 v[124:125], v[152:153], -0.5, v[6:7]
	v_fma_f64 v[60:61], v[34:35], s[4:5], v[56:57]
	v_fma_f64 v[34:35], v[34:35], s[10:11], v[56:57]
	v_add_f64_e32 v[30:31], v[185:186], v[30:31]
	v_fma_f64 v[36:37], v[22:23], -0.5, v[36:37]
	v_add_f64_e32 v[2:3], v[94:95], v[20:21]
	v_add_f64_e32 v[0:1], v[92:93], v[96:97]
	v_add_f64_e64 v[4:5], v[92:93], -v[96:97]
	v_add_f64_e64 v[6:7], v[94:95], -v[20:21]
	v_fma_f64 v[92:93], v[118:119], s[10:11], v[98:99]
	v_fma_f64 v[94:95], v[114:115], s[10:11], v[84:85]
	;; [unrolled: 1-line block ×6, first 2 shown]
	v_fma_f64 v[132:133], v[177:178], -0.5, v[10:11]
	v_fma_f64 v[126:127], v[189:190], -0.5, v[14:15]
	v_add_f64_e32 v[10:11], v[68:69], v[64:65]
	v_fma_f64 v[98:99], v[28:29], s[4:5], v[38:39]
	v_fma_f64 v[38:39], v[28:29], s[10:11], v[38:39]
	v_add_f64_e64 v[14:15], v[68:69], -v[64:65]
	v_mul_f64_e32 v[64:65], s[10:11], v[134:135]
	v_mul_f64_e32 v[68:69], 0.5, v[134:135]
	v_add_f64_e64 v[58:59], v[58:59], -v[80:81]
	v_fma_f64 v[130:131], v[172:173], -0.5, v[8:9]
	v_fma_f64 v[102:103], v[187:188], -0.5, v[12:13]
	v_add_f64_e32 v[80:81], v[193:194], v[80:81]
	v_add_f64_e32 v[86:87], v[197:198], v[86:87]
	;; [unrolled: 1-line block ×3, first 2 shown]
	v_add_f64_e64 v[12:13], v[120:121], -v[70:71]
	v_mul_f64_e32 v[70:71], s[10:11], v[24:25]
	v_mul_f64_e32 v[107:108], -0.5, v[24:25]
	v_add_f64_e64 v[150:151], v[150:151], -v[158:159]
	v_add_f64_e32 v[16:17], v[46:47], v[42:43]
	v_add_f64_e64 v[20:21], v[46:47], -v[42:43]
	v_fma_f64 v[42:43], v[72:73], s[10:11], v[26:27]
	v_mul_f64_e32 v[46:47], s[10:11], v[116:117]
	v_mul_f64_e32 v[114:115], 0.5, v[116:117]
	v_add_f64_e32 v[18:19], v[40:41], v[52:53]
	v_add_f64_e64 v[22:23], v[40:41], -v[52:53]
	v_fma_f64 v[40:41], v[72:73], s[4:5], v[26:27]
	v_mul_f64_e32 v[52:53], s[10:11], v[138:139]
	v_mul_f64_e32 v[72:73], -0.5, v[138:139]
	v_fma_f64 v[116:117], v[44:45], s[10:11], v[66:67]
	v_mul_f64_e32 v[118:119], s[10:11], v[144:145]
	v_mul_f64_e32 v[120:121], 0.5, v[144:145]
	v_fma_f64 v[44:45], v[44:45], s[4:5], v[66:67]
	v_mul_f64_e32 v[66:67], s[10:11], v[50:51]
	v_mul_f64_e32 v[50:51], -0.5, v[50:51]
	v_fma_f64 v[128:129], v[32:33], s[10:11], v[54:55]
	v_mul_f64_e32 v[134:135], s[10:11], v[60:61]
	v_mul_f64_e32 v[60:61], 0.5, v[60:61]
	v_add_f64_e32 v[24:25], v[136:137], v[142:143]
	v_add_f64_e64 v[28:29], v[136:137], -v[142:143]
	v_fma_f64 v[54:55], v[32:33], s[4:5], v[54:55]
	v_mul_f64_e32 v[136:137], s[10:11], v[34:35]
	v_mul_f64_e32 v[138:139], -0.5, v[34:35]
	v_add_f64_e32 v[26:27], v[140:141], v[30:31]
	v_add_f64_e64 v[30:31], v[140:141], -v[30:31]
	v_fma_f64 v[140:141], v[78:79], s[10:11], v[36:37]
	v_mul_f64_e32 v[142:143], s[10:11], v[98:99]
	v_mul_f64_e32 v[98:99], 0.5, v[98:99]
	v_fma_f64 v[78:79], v[78:79], s[4:5], v[36:37]
	v_mul_f64_e32 v[144:145], s[10:11], v[38:39]
	v_mul_f64_e32 v[38:39], -0.5, v[38:39]
	v_fma_f64 v[64:65], v[92:93], 0.5, v[64:65]
	v_fma_f64 v[68:69], v[92:93], s[4:5], v[68:69]
	v_add_f64_e32 v[32:33], v[80:81], v[86:87]
	v_add_f64_e64 v[36:37], v[80:81], -v[86:87]
	v_fma_f64 v[70:71], v[90:91], -0.5, v[70:71]
	v_fma_f64 v[86:87], v[90:91], s[4:5], v[107:108]
	v_fma_f64 v[80:81], v[76:77], s[10:11], v[100:101]
	;; [unrolled: 1-line block ×4, first 2 shown]
	v_fma_f64 v[92:93], v[42:43], 0.5, v[46:47]
	v_fma_f64 v[100:101], v[42:43], s[4:5], v[114:115]
	v_fma_f64 v[107:108], v[150:151], s[10:11], v[109:110]
	;; [unrolled: 1-line block ×4, first 2 shown]
	v_fma_f64 v[114:115], v[40:41], -0.5, v[52:53]
	v_fma_f64 v[72:73], v[40:41], s[4:5], v[72:73]
	v_add_f64_e32 v[82:83], v[195:196], v[82:83]
	v_fma_f64 v[118:119], v[116:117], 0.5, v[118:119]
	v_fma_f64 v[116:117], v[116:117], s[4:5], v[120:121]
	v_add_f64_e32 v[88:89], v[199:200], v[88:89]
	v_fma_f64 v[122:123], v[48:49], s[4:5], v[122:123]
	v_fma_f64 v[120:121], v[62:63], s[10:11], v[124:125]
	v_fma_f64 v[148:149], v[44:45], -0.5, v[66:67]
	v_fma_f64 v[150:151], v[44:45], s[4:5], v[50:51]
	v_fma_f64 v[124:125], v[207:208], s[10:11], v[130:131]
	;; [unrolled: 1-line block ×3, first 2 shown]
	v_fma_f64 v[134:135], v[128:129], 0.5, v[134:135]
	v_fma_f64 v[128:129], v[128:129], s[4:5], v[60:61]
	v_fma_f64 v[130:131], v[207:208], s[4:5], v[130:131]
	;; [unrolled: 1-line block ×3, first 2 shown]
	v_fma_f64 v[136:137], v[54:55], -0.5, v[136:137]
	v_fma_f64 v[138:139], v[54:55], s[4:5], v[138:139]
	v_fma_f64 v[154:155], v[74:75], s[10:11], v[102:103]
	;; [unrolled: 1-line block ×3, first 2 shown]
	v_fma_f64 v[142:143], v[140:141], 0.5, v[142:143]
	v_fma_f64 v[140:141], v[140:141], s[4:5], v[98:99]
	v_fma_f64 v[158:159], v[74:75], s[4:5], v[102:103]
	;; [unrolled: 1-line block ×3, first 2 shown]
	v_fma_f64 v[144:145], v[78:79], -0.5, v[144:145]
	v_fma_f64 v[160:161], v[78:79], s[4:5], v[38:39]
	v_add_f64_e32 v[40:41], v[94:95], v[64:65]
	v_add_f64_e32 v[42:43], v[96:97], v[68:69]
	;; [unrolled: 1-line block ×4, first 2 shown]
	v_add_f64_e64 v[44:45], v[94:95], -v[64:65]
	v_add_f64_e64 v[46:47], v[96:97], -v[68:69]
	;; [unrolled: 1-line block ×4, first 2 shown]
	v_add_f64_e32 v[56:57], v[80:81], v[92:93]
	v_add_f64_e32 v[58:59], v[90:91], v[100:101]
	v_add_f64_e64 v[60:61], v[80:81], -v[92:93]
	v_add_f64_e64 v[62:63], v[90:91], -v[100:101]
	v_add_f64_e32 v[64:65], v[76:77], v[114:115]
	v_add_f64_e32 v[66:67], v[107:108], v[72:73]
	v_add_f64_e64 v[68:69], v[76:77], -v[114:115]
	v_add_f64_e64 v[70:71], v[107:108], -v[72:73]
	v_add_f64_e32 v[72:73], v[109:110], v[118:119]
	v_add_f64_e32 v[74:75], v[146:147], v[116:117]
	;; [unrolled: 1-line block ×3, first 2 shown]
	v_add_f64_e64 v[38:39], v[82:83], -v[88:89]
	v_add_f64_e32 v[80:81], v[122:123], v[148:149]
	v_add_f64_e32 v[82:83], v[120:121], v[150:151]
	v_add_f64_e64 v[76:77], v[109:110], -v[118:119]
	v_add_f64_e64 v[78:79], v[146:147], -v[116:117]
	;; [unrolled: 1-line block ×4, first 2 shown]
	v_add_f64_e32 v[88:89], v[124:125], v[134:135]
	v_add_f64_e32 v[90:91], v[152:153], v[128:129]
	;; [unrolled: 1-line block ×4, first 2 shown]
	v_add_f64_e64 v[92:93], v[124:125], -v[134:135]
	v_add_f64_e64 v[94:95], v[152:153], -v[128:129]
	;; [unrolled: 1-line block ×4, first 2 shown]
	v_add_f64_e32 v[107:108], v[154:155], v[142:143]
	v_add_f64_e32 v[109:110], v[156:157], v[140:141]
	;; [unrolled: 1-line block ×4, first 2 shown]
	v_add_f64_e64 v[114:115], v[154:155], -v[142:143]
	v_add_f64_e64 v[116:117], v[156:157], -v[140:141]
	;; [unrolled: 1-line block ×4, first 2 shown]
	v_add3_u32 v105, 0, v105, v229
	v_add3_u32 v106, 0, v106, v230
	global_wb scope:SCOPE_SE
	s_barrier_signal -1
	s_barrier_wait -1
	global_inv scope:SCOPE_SE
	ds_store_b128 v112, v[0:3]
	ds_store_b128 v112, v[40:43] offset:1440
	ds_store_b128 v112, v[48:51] offset:2880
	ds_store_b128 v112, v[4:7] offset:4320
	ds_store_b128 v112, v[44:47] offset:5760
	ds_store_b128 v112, v[52:55] offset:7200
	ds_store_b128 v104, v[8:11]
	ds_store_b128 v104, v[56:59] offset:1440
	ds_store_b128 v104, v[64:67] offset:2880
	ds_store_b128 v104, v[12:15] offset:4320
	ds_store_b128 v104, v[60:63] offset:5760
	ds_store_b128 v104, v[68:71] offset:7200
	;; [unrolled: 6-line block ×5, first 2 shown]
	global_wb scope:SCOPE_SE
	s_wait_dscnt 0x0
	s_barrier_signal -1
	s_barrier_wait -1
	global_inv scope:SCOPE_SE
	s_clause 0x11
	global_load_b128 v[46:49], v113, s[8:9] offset:8592
	global_load_b128 v[42:45], v113, s[8:9] offset:8608
	;; [unrolled: 1-line block ×18, first 2 shown]
	v_add_nc_u32_e32 v0, 0x8700, v113
	s_clause 0x6
	global_load_b128 v[82:85], v113, s[8:9] offset:34560
	global_load_b128 v[78:81], v113, s[8:9] offset:34576
	;; [unrolled: 1-line block ×7, first 2 shown]
	ds_load_b128 v[170:173], v174 offset:8640
	ds_load_b128 v[175:178], v174 offset:17280
	;; [unrolled: 1-line block ×25, first 2 shown]
	ds_load_b128 v[0:3], v174
	s_wait_loadcnt_dscnt 0x1819
	v_mul_f64_e32 v[24:25], v[172:173], v[48:49]
	v_mul_f64_e32 v[48:49], v[170:171], v[48:49]
	s_wait_loadcnt_dscnt 0x1718
	v_mul_f64_e32 v[215:216], v[177:178], v[44:45]
	v_mul_f64_e32 v[44:45], v[175:176], v[44:45]
	;; [unrolled: 3-line block ×6, first 2 shown]
	v_mul_f64_e32 v[225:226], v[183:184], v[76:77]
	s_wait_loadcnt 0x11
	v_mul_f64_e32 v[231:232], v[189:190], v[64:65]
	v_mul_f64_e32 v[233:234], v[187:188], v[64:65]
	s_wait_loadcnt_dscnt 0x100d
	v_mul_f64_e32 v[235:236], v[209:210], v[60:61]
	v_mul_f64_e32 v[237:238], v[207:208], v[60:61]
	s_wait_loadcnt 0xf
	v_mul_f64_e32 v[241:242], v[199:200], v[32:33]
	v_mul_f64_e32 v[223:224], v[185:186], v[76:77]
	;; [unrolled: 1-line block ×3, first 2 shown]
	s_wait_loadcnt_dscnt 0xe0b
	v_mul_f64_e32 v[243:244], v[152:153], v[6:7]
	v_mul_f64_e32 v[245:246], v[150:151], v[6:7]
	s_wait_loadcnt 0xd
	v_mul_f64_e32 v[247:248], v[132:133], v[10:11]
	v_mul_f64_e32 v[249:250], v[130:131], v[10:11]
	s_wait_loadcnt_dscnt 0xc09
	v_mul_f64_e32 v[251:252], v[148:149], v[14:15]
	s_wait_loadcnt_dscnt 0x805
	v_mul_f64_e32 v[6:7], v[156:157], v[56:57]
	s_wait_loadcnt 0x4
	v_mul_f64_e32 v[10:11], v[106:107], v[88:89]
	v_mul_f64_e32 v[253:254], v[120:121], v[28:29]
	v_fma_f64 v[32:33], v[170:171], v[46:47], v[24:25]
	v_fma_f64 v[46:47], v[172:173], v[46:47], -v[48:49]
	v_fma_f64 v[72:73], v[175:176], v[42:43], v[215:216]
	v_fma_f64 v[76:77], v[177:178], v[42:43], -v[44:45]
	v_mul_f64_e32 v[175:176], v[146:147], v[14:15]
	v_mul_f64_e32 v[177:178], v[136:137], v[18:19]
	v_fma_f64 v[172:173], v[179:180], v[38:39], v[217:218]
	v_mul_f64_e32 v[179:180], v[118:119], v[28:29]
	v_fma_f64 v[170:171], v[181:182], v[38:39], -v[40:41]
	v_mul_f64_e32 v[181:182], v[124:125], v[36:37]
	v_mul_f64_e32 v[217:218], v[122:123], v[36:37]
	v_fma_f64 v[48:49], v[191:192], v[20:21], v[219:220]
	v_fma_f64 v[14:15], v[193:194], v[20:21], -v[22:23]
	v_mul_f64_e32 v[191:192], v[154:155], v[56:57]
	v_mul_f64_e32 v[193:194], v[128:129], v[68:69]
	;; [unrolled: 1-line block ×3, first 2 shown]
	s_wait_dscnt 0x3
	v_mul_f64_e32 v[40:41], v[160:161], v[84:85]
	v_fma_f64 v[42:43], v[197:198], v[50:51], -v[52:53]
	v_mul_f64_e32 v[197:198], v[158:159], v[84:85]
	v_fma_f64 v[52:53], v[203:204], v[70:71], v[227:228]
	v_mul_f64_e32 v[227:228], v[114:115], v[80:81]
	v_fma_f64 v[195:196], v[195:196], v[50:51], v[221:222]
	v_mul_f64_e32 v[50:51], v[108:109], v[88:89]
	v_fma_f64 v[56:57], v[205:206], v[70:71], -v[229:230]
	s_wait_loadcnt 0x1
	v_mul_f64_e32 v[203:204], v[112:113], v[96:97]
	v_mul_f64_e32 v[205:206], v[110:111], v[96:97]
	s_wait_loadcnt_dscnt 0x1
	v_mul_f64_e32 v[229:230], v[213:214], v[104:105]
	v_mul_f64_e32 v[104:105], v[211:212], v[104:105]
	;; [unrolled: 1-line block ×3, first 2 shown]
	v_fma_f64 v[185:186], v[185:186], v[74:75], -v[225:226]
	v_mul_f64_e32 v[225:226], v[138:139], v[92:93]
	v_fma_f64 v[64:65], v[187:188], v[62:63], v[231:232]
	v_fma_f64 v[60:61], v[189:190], v[62:63], -v[233:234]
	v_fma_f64 v[207:208], v[207:208], v[58:59], v[235:236]
	v_fma_f64 v[187:188], v[209:210], v[58:59], -v[237:238]
	v_fma_f64 v[58:59], v[201:202], v[30:31], -v[241:242]
	v_mul_f64_e32 v[215:216], v[134:135], v[18:19]
	v_fma_f64 v[183:184], v[183:184], v[74:75], v[223:224]
	v_mul_f64_e32 v[223:224], v[140:141], v[92:93]
	v_mul_f64_e32 v[44:45], v[144:145], v[100:101]
	v_mul_f64_e32 v[100:101], v[142:143], v[100:101]
	v_fma_f64 v[130:131], v[130:131], v[8:9], v[247:248]
	v_fma_f64 v[132:133], v[132:133], v[8:9], -v[249:250]
	v_fma_f64 v[80:81], v[134:135], v[16:17], v[177:178]
	v_fma_f64 v[134:135], v[148:149], v[12:13], -v[175:176]
	v_fma_f64 v[74:75], v[120:121], v[26:27], -v[179:180]
	v_fma_f64 v[120:121], v[154:155], v[54:55], v[6:7]
	v_fma_f64 v[8:9], v[122:123], v[34:35], v[181:182]
	;; [unrolled: 1-line block ×3, first 2 shown]
	v_fma_f64 v[88:89], v[152:153], v[4:5], -v[245:246]
	ds_load_b128 v[22:25], v174 offset:1728
	ds_load_b128 v[18:21], v174 offset:3456
	v_fma_f64 v[122:123], v[156:157], v[54:55], -v[191:192]
	v_fma_f64 v[6:7], v[126:127], v[66:67], v[193:194]
	v_fma_f64 v[146:147], v[146:147], v[12:13], v[251:252]
	;; [unrolled: 1-line block ×3, first 2 shown]
	v_add_f64_e32 v[40:41], v[170:171], v[42:43]
	v_fma_f64 v[54:55], v[160:161], v[82:83], -v[197:198]
	v_fma_f64 v[82:83], v[124:125], v[34:35], -v[217:218]
	;; [unrolled: 1-line block ×4, first 2 shown]
	v_fma_f64 v[4:5], v[106:107], v[86:87], v[50:51]
	v_fma_f64 v[86:87], v[108:109], v[86:87], -v[10:11]
	v_fma_f64 v[10:11], v[110:111], v[94:95], v[203:204]
	v_fma_f64 v[94:95], v[112:113], v[94:95], -v[205:206]
	;; [unrolled: 2-line block ×3, first 2 shown]
	v_fma_f64 v[78:79], v[114:115], v[78:79], v[221:222]
	v_add_f64_e32 v[116:117], v[76:77], v[14:15]
	v_fma_f64 v[96:97], v[140:141], v[90:91], -v[225:226]
	v_add_f64_e32 v[104:105], v[32:33], v[172:173]
	v_add_f64_e32 v[106:107], v[46:47], v[170:171]
	;; [unrolled: 1-line block ×5, first 2 shown]
	v_fma_f64 v[70:71], v[136:137], v[16:17], -v[215:216]
	s_wait_dscnt 0x1
	v_add_f64_e32 v[108:109], v[22:23], v[52:53]
	v_fma_f64 v[92:93], v[138:139], v[90:91], v[223:224]
	v_fma_f64 v[90:91], v[118:119], v[26:27], v[253:254]
	v_fma_f64 v[16:17], v[144:145], v[98:99], -v[100:101]
	v_fma_f64 v[26:27], v[211:212], v[102:103], v[229:230]
	v_add_f64_e32 v[100:101], v[0:1], v[72:73]
	v_add_f64_e32 v[102:103], v[2:3], v[76:77]
	v_fma_f64 v[12:13], v[142:143], v[98:99], v[44:45]
	v_add_f64_e32 v[158:159], v[134:135], v[74:75]
	v_add_f64_e32 v[44:45], v[183:184], v[64:65]
	v_add_f64_e32 v[50:51], v[185:186], v[60:61]
	v_add_f64_e32 v[118:119], v[130:131], v[80:81]
	v_add_f64_e32 v[98:99], v[24:25], v[56:57]
	ds_load_b128 v[28:31], v174 offset:5184
	ds_load_b128 v[36:39], v174 offset:6912
	v_dual_mov_b32 v206, v33 :: v_dual_mov_b32 v205, v32
	s_wait_dscnt 0x2
	v_add_f64_e32 v[128:129], v[18:19], v[130:131]
	v_add_f64_e32 v[136:137], v[20:21], v[132:133]
	;; [unrolled: 1-line block ×5, first 2 shown]
	v_add_f64_e64 v[172:173], v[172:173], -v[195:196]
	v_add_f64_e32 v[193:194], v[124:125], v[66:67]
	v_mov_b32_e32 v32, v48
	v_fma_f64 v[40:41], v[40:41], -0.5, v[46:47]
	v_add_f64_e32 v[114:115], v[72:73], v[48:49]
	v_add_f64_e32 v[144:145], v[120:121], v[84:85]
	;; [unrolled: 1-line block ×5, first 2 shown]
	v_mov_b32_e32 v33, v49
	v_add_f64_e32 v[197:198], v[64:65], v[62:63]
	s_wait_dscnt 0x1
	v_add_f64_e32 v[150:151], v[28:29], v[120:121]
	v_add_f64_e64 v[64:65], v[64:65], -v[62:63]
	v_add_f64_e64 v[48:49], v[130:131], -v[80:81]
	;; [unrolled: 1-line block ×3, first 2 shown]
	v_add_f64_e32 v[134:135], v[6:7], v[78:79]
	v_add_f64_e64 v[203:204], v[6:7], -v[78:79]
	v_fma_f64 v[6:7], v[140:141], -0.5, v[185:186]
	v_add_f64_e32 v[152:153], v[30:31], v[122:123]
	v_add_f64_e32 v[156:157], v[82:83], v[124:125]
	;; [unrolled: 1-line block ×5, first 2 shown]
	v_add_f64_e64 v[146:147], v[146:147], -v[90:91]
	v_fma_f64 v[116:117], v[116:117], -0.5, v[2:3]
	v_fma_f64 v[2:3], v[158:159], -0.5, v[88:89]
	v_add_f64_e32 v[181:182], v[4:5], v[10:11]
	v_add_f64_e64 v[72:73], v[72:73], -v[32:33]
	v_add_f64_e32 v[140:141], v[10:11], v[26:27]
	v_add_f64_e64 v[185:186], v[10:11], -v[26:27]
	v_add_f64_e32 v[10:11], v[100:101], v[32:33]
	v_add_f64_e32 v[32:33], v[104:105], v[195:196]
	v_fma_f64 v[100:101], v[112:113], -0.5, v[24:25]
	v_add_f64_e64 v[76:77], v[76:77], -v[14:15]
	v_add_f64_e64 v[170:171], v[170:171], -v[42:43]
	v_add_f64_e32 v[14:15], v[102:103], v[14:15]
	v_add_f64_e32 v[42:43], v[106:107], v[42:43]
	s_wait_dscnt 0x0
	v_add_f64_e32 v[177:178], v[36:37], v[92:93]
	v_add_f64_e64 v[60:61], v[60:61], -v[58:59]
	v_fma_f64 v[24:25], v[193:194], -0.5, v[82:83]
	v_fma_f64 v[88:89], v[110:111], -0.5, v[22:23]
	v_add_f64_e32 v[22:23], v[108:109], v[207:208]
	v_add_f64_e32 v[44:45], v[44:45], v[62:63]
	;; [unrolled: 1-line block ×3, first 2 shown]
	v_fma_f64 v[58:59], v[118:119], -0.5, v[18:19]
	v_fma_f64 v[18:19], v[199:200], -0.5, v[86:87]
	v_add_f64_e32 v[46:47], v[98:99], v[187:188]
	v_add_f64_e32 v[179:180], v[38:39], v[96:97]
	v_add_f64_e64 v[132:133], v[132:133], -v[70:71]
	v_add_f64_e32 v[62:63], v[128:129], v[80:81]
	v_add_f64_e32 v[80:81], v[138:139], v[90:91]
	;; [unrolled: 1-line block ×4, first 2 shown]
	v_fma_f64 v[86:87], v[191:192], -0.5, v[205:206]
	v_fma_f64 v[90:91], v[172:173], s[4:5], v[40:41]
	v_add_f64_e64 v[120:121], v[120:121], -v[84:85]
	v_add_f64_e32 v[84:85], v[150:151], v[84:85]
	v_add_f64_e32 v[78:79], v[154:155], v[78:79]
	v_fma_f64 v[98:99], v[144:145], -0.5, v[28:29]
	v_fma_f64 v[28:29], v[172:173], s[10:11], v[40:41]
	v_fma_f64 v[40:41], v[148:149], -0.5, v[30:31]
	v_fma_f64 v[102:103], v[197:198], -0.5, v[183:184]
	v_fma_f64 v[30:31], v[64:65], s[4:5], v[6:7]
	v_add_f64_e64 v[122:123], v[122:123], -v[54:55]
	v_add_f64_e64 v[124:125], v[124:125], -v[66:67]
	v_add_f64_e32 v[54:55], v[152:153], v[54:55]
	v_add_f64_e32 v[66:67], v[156:157], v[66:67]
	v_fma_f64 v[64:65], v[64:65], s[10:11], v[6:7]
	v_add_f64_e64 v[94:95], v[94:95], -v[34:35]
	v_fma_f64 v[82:83], v[126:127], -0.5, v[20:21]
	v_add_f64_e32 v[110:111], v[189:190], v[34:35]
	v_fma_f64 v[34:35], v[201:202], -0.5, v[68:69]
	v_fma_f64 v[68:69], v[146:147], s[4:5], v[2:3]
	v_fma_f64 v[126:127], v[146:147], s[10:11], v[2:3]
	v_fma_f64 v[114:115], v[114:115], -0.5, v[0:1]
	v_fma_f64 v[112:113], v[134:135], -0.5, v[8:9]
	;; [unrolled: 1-line block ×3, first 2 shown]
	v_add_f64_e32 v[0:1], v[10:11], v[32:33]
	v_add_f64_e64 v[4:5], v[10:11], -v[32:33]
	v_fma_f64 v[32:33], v[203:204], s[4:5], v[24:25]
	v_add_f64_e32 v[2:3], v[14:15], v[42:43]
	v_add_f64_e64 v[6:7], v[14:15], -v[42:43]
	v_fma_f64 v[42:43], v[203:204], s[10:11], v[24:25]
	v_add_f64_e32 v[160:161], v[92:93], v[12:13]
	v_add_f64_e32 v[175:176], v[96:97], v[16:17]
	v_add_f64_e64 v[92:93], v[92:93], -v[12:13]
	v_add_f64_e32 v[104:105], v[177:178], v[12:13]
	v_add_f64_e32 v[8:9], v[22:23], v[44:45]
	v_add_f64_e64 v[12:13], v[22:23], -v[44:45]
	v_fma_f64 v[44:45], v[185:186], s[4:5], v[18:19]
	v_add_f64_e32 v[10:11], v[46:47], v[50:51]
	v_add_f64_e64 v[14:15], v[46:47], -v[50:51]
	v_fma_f64 v[46:47], v[185:186], s[10:11], v[18:19]
	v_add_f64_e64 v[96:97], v[96:97], -v[16:17]
	v_add_f64_e32 v[106:107], v[179:180], v[16:17]
	v_add_f64_e32 v[16:17], v[62:63], v[80:81]
	;; [unrolled: 1-line block ×3, first 2 shown]
	v_add_f64_e64 v[20:21], v[62:63], -v[80:81]
	v_add_f64_e64 v[22:23], v[70:71], -v[74:75]
	v_fma_f64 v[50:51], v[170:171], s[10:11], v[86:87]
	v_mul_f64_e32 v[62:63], s[10:11], v[90:91]
	v_mul_f64_e32 v[70:71], 0.5, v[90:91]
	v_add_f64_e64 v[56:57], v[56:57], -v[187:188]
	v_add_f64_e64 v[52:53], v[52:53], -v[207:208]
	v_add_f64_e32 v[24:25], v[84:85], v[78:79]
	v_fma_f64 v[74:75], v[170:171], s[4:5], v[86:87]
	v_mul_f64_e32 v[80:81], s[10:11], v[28:29]
	v_mul_f64_e32 v[86:87], -0.5, v[28:29]
	v_add_f64_e64 v[28:29], v[84:85], -v[78:79]
	v_fma_f64 v[78:79], v[60:61], s[10:11], v[102:103]
	v_mul_f64_e32 v[84:85], s[10:11], v[30:31]
	v_mul_f64_e32 v[90:91], 0.5, v[30:31]
	v_add_f64_e32 v[108:109], v[181:182], v[26:27]
	v_add_f64_e32 v[26:27], v[54:55], v[66:67]
	v_add_f64_e64 v[30:31], v[54:55], -v[66:67]
	v_fma_f64 v[54:55], v[60:61], s[4:5], v[102:103]
	v_mul_f64_e32 v[60:61], s[10:11], v[64:65]
	v_mul_f64_e32 v[64:65], -0.5, v[64:65]
	v_fma_f64 v[102:103], v[130:131], s[10:11], v[34:35]
	v_mul_f64_e32 v[128:129], s[10:11], v[68:69]
	v_fma_f64 v[34:35], v[130:131], s[4:5], v[34:35]
	v_mul_f64_e32 v[130:131], s[10:11], v[126:127]
	v_mul_f64_e32 v[126:127], -0.5, v[126:127]
	v_mul_f64_e32 v[68:69], 0.5, v[68:69]
	v_fma_f64 v[136:137], v[124:125], s[10:11], v[112:113]
	v_fma_f64 v[112:113], v[124:125], s[4:5], v[112:113]
	v_mul_f64_e32 v[124:125], s[10:11], v[32:33]
	v_mul_f64_e32 v[32:33], 0.5, v[32:33]
	v_mul_f64_e32 v[138:139], s[10:11], v[42:43]
	v_mul_f64_e32 v[42:43], -0.5, v[42:43]
	v_fma_f64 v[36:37], v[160:161], -0.5, v[36:37]
	v_fma_f64 v[38:39], v[175:176], -0.5, v[38:39]
	v_fma_f64 v[140:141], v[94:95], s[10:11], v[118:119]
	v_fma_f64 v[94:95], v[94:95], s[4:5], v[118:119]
	v_mul_f64_e32 v[118:119], s[10:11], v[44:45]
	v_mul_f64_e32 v[44:45], 0.5, v[44:45]
	v_mul_f64_e32 v[142:143], s[10:11], v[46:47]
	v_mul_f64_e32 v[46:47], -0.5, v[46:47]
	v_fma_f64 v[66:67], v[76:77], s[10:11], v[114:115]
	v_fma_f64 v[134:135], v[72:73], s[4:5], v[116:117]
	v_fma_f64 v[62:63], v[50:51], 0.5, v[62:63]
	v_fma_f64 v[50:51], v[50:51], s[4:5], v[70:71]
	v_fma_f64 v[76:77], v[76:77], s[4:5], v[114:115]
	;; [unrolled: 1-line block ×7, first 2 shown]
	v_fma_f64 v[52:53], v[74:75], -0.5, v[80:81]
	v_fma_f64 v[56:57], v[74:75], s[4:5], v[86:87]
	v_fma_f64 v[74:75], v[78:79], 0.5, v[84:85]
	v_fma_f64 v[78:79], v[78:79], s[4:5], v[90:91]
	v_fma_f64 v[86:87], v[48:49], s[4:5], v[82:83]
	;; [unrolled: 1-line block ×3, first 2 shown]
	v_fma_f64 v[82:83], v[54:55], -0.5, v[60:61]
	v_fma_f64 v[100:101], v[54:55], s[4:5], v[64:65]
	v_fma_f64 v[80:81], v[132:133], s[10:11], v[58:59]
	;; [unrolled: 1-line block ×4, first 2 shown]
	v_fma_f64 v[128:129], v[102:103], 0.5, v[128:129]
	v_fma_f64 v[98:99], v[122:123], s[4:5], v[98:99]
	v_fma_f64 v[122:123], v[34:35], -0.5, v[130:131]
	v_fma_f64 v[126:127], v[34:35], s[4:5], v[126:127]
	v_fma_f64 v[102:103], v[102:103], s[4:5], v[68:69]
	;; [unrolled: 1-line block ×3, first 2 shown]
	v_fma_f64 v[124:125], v[136:137], 0.5, v[124:125]
	v_fma_f64 v[136:137], v[136:137], s[4:5], v[32:33]
	v_fma_f64 v[120:121], v[120:121], s[10:11], v[40:41]
	v_fma_f64 v[138:139], v[112:113], -0.5, v[138:139]
	v_fma_f64 v[112:113], v[112:113], s[4:5], v[42:43]
	v_fma_f64 v[130:131], v[96:97], s[10:11], v[36:37]
	;; [unrolled: 1-line block ×3, first 2 shown]
	v_fma_f64 v[118:119], v[140:141], 0.5, v[118:119]
	v_fma_f64 v[140:141], v[140:141], s[4:5], v[44:45]
	v_fma_f64 v[148:149], v[96:97], s[4:5], v[36:37]
	;; [unrolled: 1-line block ×3, first 2 shown]
	v_fma_f64 v[142:143], v[94:95], -0.5, v[142:143]
	v_fma_f64 v[152:153], v[94:95], s[4:5], v[46:47]
	v_add_f64_e32 v[32:33], v[104:105], v[108:109]
	v_add_f64_e32 v[34:35], v[106:107], v[110:111]
	;; [unrolled: 1-line block ×4, first 2 shown]
	v_add_f64_e64 v[46:47], v[134:135], -v[50:51]
	v_add_f64_e64 v[44:45], v[66:67], -v[62:63]
	;; [unrolled: 1-line block ×4, first 2 shown]
	v_add_f64_e32 v[48:49], v[76:77], v[52:53]
	v_add_f64_e32 v[50:51], v[72:73], v[56:57]
	v_add_f64_e64 v[54:55], v[72:73], -v[56:57]
	v_add_f64_e32 v[56:57], v[114:115], v[74:75]
	v_add_f64_e32 v[58:59], v[116:117], v[78:79]
	v_add_f64_e64 v[52:53], v[76:77], -v[52:53]
	v_add_f64_e32 v[64:65], v[70:71], v[82:83]
	v_add_f64_e64 v[68:69], v[70:71], -v[82:83]
	v_add_f64_e64 v[70:71], v[88:89], -v[100:101]
	v_add_f64_e32 v[66:67], v[88:89], v[100:101]
	v_add_f64_e64 v[60:61], v[114:115], -v[74:75]
	v_add_f64_e32 v[72:73], v[80:81], v[128:129]
	;; [unrolled: 2-line block ×3, first 2 shown]
	v_add_f64_e32 v[82:83], v[90:91], v[126:127]
	v_add_f64_e64 v[62:63], v[116:117], -v[78:79]
	v_add_f64_e64 v[78:79], v[86:87], -v[102:103]
	v_add_f64_e32 v[74:75], v[86:87], v[102:103]
	v_add_f64_e64 v[86:87], v[90:91], -v[126:127]
	v_add_f64_e32 v[88:89], v[132:133], v[124:125]
	v_add_f64_e32 v[90:91], v[144:145], v[136:137]
	v_add_f64_e64 v[84:85], v[84:85], -v[122:123]
	v_add_f64_e32 v[92:93], v[98:99], v[138:139]
	v_add_f64_e64 v[96:97], v[98:99], -v[138:139]
	v_add_f64_e64 v[98:99], v[120:121], -v[112:113]
	v_add_f64_e32 v[100:101], v[130:131], v[118:119]
	v_add_f64_e32 v[102:103], v[146:147], v[140:141]
	;; [unrolled: 1-line block ×5, first 2 shown]
	v_add_f64_e64 v[108:109], v[132:133], -v[124:125]
	v_add_f64_e64 v[110:111], v[144:145], -v[136:137]
	;; [unrolled: 1-line block ×6, first 2 shown]
	global_wb scope:SCOPE_SE
	s_barrier_signal -1
	s_barrier_wait -1
	global_inv scope:SCOPE_SE
	ds_store_b128 v174, v[4:7] offset:25920
	ds_store_b128 v174, v[12:15] offset:27648
	ds_store_b128 v174, v[8:11] offset:1728
	ds_store_b128 v174, v[16:19] offset:3456
	ds_store_b128 v174, v[20:23] offset:29376
	ds_store_b128 v174, v[28:31] offset:31104
	ds_store_b128 v174, v[24:27] offset:5184
	ds_store_b128 v174, v[32:35] offset:6912
	ds_store_b128 v174, v[40:43] offset:8640
	ds_store_b128 v174, v[56:59] offset:10368
	ds_store_b128 v174, v[52:55] offset:43200
	ds_store_b128 v174, v[68:71] offset:44928
	ds_store_b128 v174, v[64:67] offset:19008
	ds_store_b128 v174, v[80:83] offset:20736
	ds_store_b128 v174, v[60:63] offset:36288
	ds_store_b128 v174, v[76:79] offset:38016
	ds_store_b128 v174, v[72:75] offset:12096
	ds_store_b128 v174, v[88:91] offset:13824
	ds_store_b128 v174, v[84:87] offset:46656
	ds_store_b128 v174, v[96:99] offset:48384
	ds_store_b128 v174, v[48:51] offset:17280
	ds_store_b128 v174, v[100:103] offset:15552
	ds_store_b128 v174, v[92:95] offset:22464
	ds_store_b128 v174, v[104:107] offset:24192
	ds_store_b128 v174, v[44:47] offset:34560
	ds_store_b128 v174, v[36:39] offset:32832
	ds_store_b128 v174, v[108:111] offset:39744
	ds_store_b128 v174, v[112:115] offset:41472
	ds_store_b128 v174, v[0:3]
	ds_store_b128 v174, v[116:119] offset:50112
	global_wb scope:SCOPE_SE
	s_wait_dscnt 0x0
	s_barrier_signal -1
	s_barrier_wait -1
	global_inv scope:SCOPE_SE
	s_and_saveexec_b32 s0, vcc_lo
	s_cbranch_execz .LBB0_21
; %bb.20:
	v_mul_lo_u32 v0, s3, v166
	v_mul_lo_u32 v1, s2, v167
	v_mad_co_u64_u32 v[4:5], null, s2, v166, 0
	v_dual_mov_b32 v163, v169 :: v_dual_add_nc_u32 v168, 0x6c, v162
	v_lshlrev_b64_e32 v[12:13], 4, v[164:165]
	v_lshl_add_u32 v32, v162, 4, 0
	s_delay_alu instid0(VALU_DEP_3)
	v_lshlrev_b64_e32 v[14:15], 4, v[162:163]
	v_add3_u32 v5, v5, v1, v0
	v_lshlrev_b64_e32 v[18:19], 4, v[168:169]
	v_add_nc_u32_e32 v168, 0xd8, v162
	ds_load_b128 v[0:3], v32
	v_lshlrev_b64_e32 v[16:17], 4, v[4:5]
	ds_load_b128 v[4:7], v32 offset:1728
	ds_load_b128 v[8:11], v32 offset:3456
	v_add_co_u32 v20, vcc_lo, s6, v16
	s_wait_alu 0xfffd
	v_add_co_ci_u32_e32 v21, vcc_lo, s7, v17, vcc_lo
	v_lshlrev_b64_e32 v[16:17], 4, v[168:169]
	s_delay_alu instid0(VALU_DEP_3) | instskip(SKIP_1) | instid1(VALU_DEP_3)
	v_add_co_u32 v36, vcc_lo, v20, v12
	s_wait_alu 0xfffd
	v_add_co_ci_u32_e32 v37, vcc_lo, v21, v13, vcc_lo
	v_add_nc_u32_e32 v168, 0x144, v162
	s_delay_alu instid0(VALU_DEP_3) | instskip(SKIP_1) | instid1(VALU_DEP_3)
	v_add_co_u32 v20, vcc_lo, v36, v14
	s_wait_alu 0xfffd
	v_add_co_ci_u32_e32 v21, vcc_lo, v37, v15, vcc_lo
	ds_load_b128 v[12:15], v32 offset:5184
	v_add_co_u32 v22, vcc_lo, v36, v18
	s_wait_alu 0xfffd
	v_add_co_ci_u32_e32 v23, vcc_lo, v37, v19, vcc_lo
	v_lshlrev_b64_e32 v[18:19], 4, v[168:169]
	v_add_nc_u32_e32 v168, 0x1b0, v162
	v_add_co_u32 v24, vcc_lo, v36, v16
	s_wait_alu 0xfffd
	v_add_co_ci_u32_e32 v25, vcc_lo, v37, v17, vcc_lo
	s_delay_alu instid0(VALU_DEP_4)
	v_add_co_u32 v26, vcc_lo, v36, v18
	v_lshlrev_b64_e32 v[28:29], 4, v[168:169]
	v_add_nc_u32_e32 v168, 0x21c, v162
	s_wait_alu 0xfffd
	v_add_co_ci_u32_e32 v27, vcc_lo, v37, v19, vcc_lo
	ds_load_b128 v[16:19], v32 offset:50112
	s_wait_dscnt 0x4
	global_store_b128 v[20:21], v[0:3], off
	s_wait_dscnt 0x3
	global_store_b128 v[22:23], v[4:7], off
	v_lshlrev_b64_e32 v[20:21], 4, v[168:169]
	v_add_nc_u32_e32 v168, 0x288, v162
	ds_load_b128 v[0:3], v32 offset:6912
	s_wait_dscnt 0x3
	global_store_b128 v[24:25], v[8:11], off
	s_wait_dscnt 0x2
	global_store_b128 v[26:27], v[12:15], off
	ds_load_b128 v[4:7], v32 offset:8640
	ds_load_b128 v[8:11], v32 offset:10368
	ds_load_b128 v[12:15], v32 offset:12096
	v_lshlrev_b64_e32 v[24:25], 4, v[168:169]
	v_add_nc_u32_e32 v168, 0x2f4, v162
	v_add_co_u32 v22, vcc_lo, v36, v28
	s_wait_alu 0xfffd
	v_add_co_ci_u32_e32 v23, vcc_lo, v37, v29, vcc_lo
	v_add_co_u32 v20, vcc_lo, v36, v20
	v_lshlrev_b64_e32 v[26:27], 4, v[168:169]
	v_add_nc_u32_e32 v168, 0x360, v162
	s_wait_alu 0xfffd
	v_add_co_ci_u32_e32 v21, vcc_lo, v37, v21, vcc_lo
	v_add_co_u32 v24, vcc_lo, v36, v24
	s_wait_alu 0xfffd
	v_add_co_ci_u32_e32 v25, vcc_lo, v37, v25, vcc_lo
	v_add_co_u32 v26, vcc_lo, v36, v26
	v_lshlrev_b64_e32 v[28:29], 4, v[168:169]
	v_add_nc_u32_e32 v168, 0x3cc, v162
	s_wait_alu 0xfffd
	v_add_co_ci_u32_e32 v27, vcc_lo, v37, v27, vcc_lo
	s_wait_dscnt 0x3
	global_store_b128 v[22:23], v[0:3], off
	s_wait_dscnt 0x2
	global_store_b128 v[20:21], v[4:7], off
	ds_load_b128 v[0:3], v32 offset:13824
	v_lshlrev_b64_e32 v[20:21], 4, v[168:169]
	v_add_nc_u32_e32 v168, 0x438, v162
	s_wait_dscnt 0x2
	global_store_b128 v[24:25], v[8:11], off
	s_wait_dscnt 0x1
	global_store_b128 v[26:27], v[12:15], off
	ds_load_b128 v[4:7], v32 offset:15552
	ds_load_b128 v[8:11], v32 offset:17280
	ds_load_b128 v[12:15], v32 offset:19008
	v_add_co_u32 v22, vcc_lo, v36, v28
	v_lshlrev_b64_e32 v[24:25], 4, v[168:169]
	v_add_nc_u32_e32 v168, 0x4a4, v162
	s_wait_alu 0xfffd
	v_add_co_ci_u32_e32 v23, vcc_lo, v37, v29, vcc_lo
	v_add_co_u32 v20, vcc_lo, v36, v20
	s_delay_alu instid0(VALU_DEP_3)
	v_lshlrev_b64_e32 v[26:27], 4, v[168:169]
	v_add_nc_u32_e32 v168, 0x510, v162
	s_wait_alu 0xfffd
	v_add_co_ci_u32_e32 v21, vcc_lo, v37, v21, vcc_lo
	v_add_co_u32 v24, vcc_lo, v36, v24
	s_wait_alu 0xfffd
	v_add_co_ci_u32_e32 v25, vcc_lo, v37, v25, vcc_lo
	v_add_co_u32 v26, vcc_lo, v36, v26
	v_lshlrev_b64_e32 v[28:29], 4, v[168:169]
	v_add_nc_u32_e32 v168, 0x57c, v162
	s_wait_alu 0xfffd
	v_add_co_ci_u32_e32 v27, vcc_lo, v37, v27, vcc_lo
	s_wait_dscnt 0x3
	global_store_b128 v[22:23], v[0:3], off
	s_wait_dscnt 0x2
	global_store_b128 v[20:21], v[4:7], off
	ds_load_b128 v[0:3], v32 offset:20736
	v_lshlrev_b64_e32 v[20:21], 4, v[168:169]
	v_add_nc_u32_e32 v168, 0x5e8, v162
	s_wait_dscnt 0x2
	global_store_b128 v[24:25], v[8:11], off
	s_wait_dscnt 0x1
	global_store_b128 v[26:27], v[12:15], off
	ds_load_b128 v[4:7], v32 offset:22464
	ds_load_b128 v[8:11], v32 offset:24192
	ds_load_b128 v[12:15], v32 offset:25920
	v_add_co_u32 v22, vcc_lo, v36, v28
	v_lshlrev_b64_e32 v[24:25], 4, v[168:169]
	v_add_nc_u32_e32 v168, 0x654, v162
	s_wait_alu 0xfffd
	v_add_co_ci_u32_e32 v23, vcc_lo, v37, v29, vcc_lo
	v_add_co_u32 v20, vcc_lo, v36, v20
	s_delay_alu instid0(VALU_DEP_3)
	v_lshlrev_b64_e32 v[26:27], 4, v[168:169]
	v_add_nc_u32_e32 v168, 0x6c0, v162
	s_wait_alu 0xfffd
	v_add_co_ci_u32_e32 v21, vcc_lo, v37, v21, vcc_lo
	v_add_co_u32 v24, vcc_lo, v36, v24
	s_wait_alu 0xfffd
	v_add_co_ci_u32_e32 v25, vcc_lo, v37, v25, vcc_lo
	v_add_co_u32 v26, vcc_lo, v36, v26
	v_lshlrev_b64_e32 v[28:29], 4, v[168:169]
	v_add_nc_u32_e32 v168, 0x72c, v162
	s_wait_alu 0xfffd
	v_add_co_ci_u32_e32 v27, vcc_lo, v37, v27, vcc_lo
	s_wait_dscnt 0x3
	global_store_b128 v[22:23], v[0:3], off
	s_wait_dscnt 0x2
	global_store_b128 v[20:21], v[4:7], off
	ds_load_b128 v[0:3], v32 offset:27648
	v_lshlrev_b64_e32 v[20:21], 4, v[168:169]
	v_add_nc_u32_e32 v168, 0x798, v162
	s_wait_dscnt 0x2
	global_store_b128 v[24:25], v[8:11], off
	s_wait_dscnt 0x1
	global_store_b128 v[26:27], v[12:15], off
	ds_load_b128 v[4:7], v32 offset:29376
	ds_load_b128 v[8:11], v32 offset:31104
	ds_load_b128 v[12:15], v32 offset:32832
	v_add_co_u32 v22, vcc_lo, v36, v28
	v_lshlrev_b64_e32 v[24:25], 4, v[168:169]
	v_add_nc_u32_e32 v168, 0x804, v162
	s_wait_alu 0xfffd
	v_add_co_ci_u32_e32 v23, vcc_lo, v37, v29, vcc_lo
	v_add_co_u32 v20, vcc_lo, v36, v20
	s_delay_alu instid0(VALU_DEP_3)
	v_lshlrev_b64_e32 v[26:27], 4, v[168:169]
	s_wait_alu 0xfffd
	v_add_co_ci_u32_e32 v21, vcc_lo, v37, v21, vcc_lo
	v_add_nc_u32_e32 v168, 0x870, v162
	v_add_co_u32 v24, vcc_lo, v36, v24
	s_wait_alu 0xfffd
	v_add_co_ci_u32_e32 v25, vcc_lo, v37, v25, vcc_lo
	v_add_co_u32 v26, vcc_lo, v36, v26
	v_lshlrev_b64_e32 v[28:29], 4, v[168:169]
	v_add_nc_u32_e32 v168, 0x8dc, v162
	s_wait_alu 0xfffd
	v_add_co_ci_u32_e32 v27, vcc_lo, v37, v27, vcc_lo
	s_wait_dscnt 0x3
	global_store_b128 v[22:23], v[0:3], off
	s_wait_dscnt 0x2
	global_store_b128 v[20:21], v[4:7], off
	ds_load_b128 v[0:3], v32 offset:34560
	s_wait_dscnt 0x2
	global_store_b128 v[24:25], v[8:11], off
	s_wait_dscnt 0x1
	global_store_b128 v[26:27], v[12:15], off
	v_lshlrev_b64_e32 v[20:21], 4, v[168:169]
	v_add_nc_u32_e32 v168, 0x948, v162
	ds_load_b128 v[4:7], v32 offset:36288
	ds_load_b128 v[8:11], v32 offset:38016
	;; [unrolled: 1-line block ×3, first 2 shown]
	v_add_co_u32 v22, vcc_lo, v36, v28
	v_lshlrev_b64_e32 v[24:25], 4, v[168:169]
	v_add_nc_u32_e32 v168, 0x9b4, v162
	s_wait_alu 0xfffd
	v_add_co_ci_u32_e32 v23, vcc_lo, v37, v29, vcc_lo
	v_add_co_u32 v20, vcc_lo, v36, v20
	s_delay_alu instid0(VALU_DEP_3) | instskip(SKIP_4) | instid1(VALU_DEP_3)
	v_lshlrev_b64_e32 v[26:27], 4, v[168:169]
	v_add_nc_u32_e32 v168, 0xa20, v162
	s_wait_alu 0xfffd
	v_add_co_ci_u32_e32 v21, vcc_lo, v37, v21, vcc_lo
	v_add_co_u32 v24, vcc_lo, v36, v24
	v_lshlrev_b64_e32 v[28:29], 4, v[168:169]
	v_add_nc_u32_e32 v168, 0xa8c, v162
	s_wait_alu 0xfffd
	v_add_co_ci_u32_e32 v25, vcc_lo, v37, v25, vcc_lo
	v_add_co_u32 v26, vcc_lo, v36, v26
	s_wait_dscnt 0x3
	global_store_b128 v[22:23], v[0:3], off
	s_wait_dscnt 0x2
	global_store_b128 v[20:21], v[4:7], off
	v_lshlrev_b64_e32 v[4:5], 4, v[168:169]
	v_add_nc_u32_e32 v168, 0xaf8, v162
	s_wait_alu 0xfffd
	v_add_co_ci_u32_e32 v27, vcc_lo, v37, v27, vcc_lo
	ds_load_b128 v[0:3], v32 offset:41472
	s_wait_dscnt 0x2
	global_store_b128 v[24:25], v[8:11], off
	s_wait_dscnt 0x1
	global_store_b128 v[26:27], v[12:15], off
	v_add_co_u32 v24, vcc_lo, v36, v28
	v_lshlrev_b64_e32 v[12:13], 4, v[168:169]
	s_wait_alu 0xfffd
	v_add_co_ci_u32_e32 v25, vcc_lo, v37, v29, vcc_lo
	v_add_co_u32 v26, vcc_lo, v36, v4
	v_add_nc_u32_e32 v168, 0xb64, v162
	s_wait_alu 0xfffd
	v_add_co_ci_u32_e32 v27, vcc_lo, v37, v5, vcc_lo
	v_add_co_u32 v30, vcc_lo, v36, v12
	ds_load_b128 v[4:7], v32 offset:43200
	ds_load_b128 v[8:11], v32 offset:44928
	s_wait_alu 0xfffd
	v_add_co_ci_u32_e32 v31, vcc_lo, v37, v13, vcc_lo
	ds_load_b128 v[12:15], v32 offset:46656
	ds_load_b128 v[20:23], v32 offset:48384
	v_lshlrev_b64_e32 v[28:29], 4, v[168:169]
	v_add_nc_u32_e32 v168, 0xbd0, v162
	s_delay_alu instid0(VALU_DEP_1) | instskip(SKIP_1) | instid1(VALU_DEP_4)
	v_lshlrev_b64_e32 v[32:33], 4, v[168:169]
	v_add_nc_u32_e32 v168, 0xc3c, v162
	v_add_co_u32 v28, vcc_lo, v36, v28
	s_wait_alu 0xfffd
	v_add_co_ci_u32_e32 v29, vcc_lo, v37, v29, vcc_lo
	s_delay_alu instid0(VALU_DEP_3) | instskip(SKIP_3) | instid1(VALU_DEP_3)
	v_lshlrev_b64_e32 v[34:35], 4, v[168:169]
	v_add_co_u32 v32, vcc_lo, v36, v32
	s_wait_alu 0xfffd
	v_add_co_ci_u32_e32 v33, vcc_lo, v37, v33, vcc_lo
	v_add_co_u32 v34, vcc_lo, v36, v34
	s_wait_alu 0xfffd
	v_add_co_ci_u32_e32 v35, vcc_lo, v37, v35, vcc_lo
	s_wait_dscnt 0x4
	global_store_b128 v[24:25], v[0:3], off
	s_wait_dscnt 0x3
	global_store_b128 v[26:27], v[4:7], off
	s_wait_dscnt 0x2
	global_store_b128 v[30:31], v[8:11], off
	s_wait_dscnt 0x1
	global_store_b128 v[28:29], v[12:15], off
	s_wait_dscnt 0x0
	s_clause 0x1
	global_store_b128 v[32:33], v[20:23], off
	global_store_b128 v[34:35], v[16:19], off
.LBB0_21:
	s_nop 0
	s_sendmsg sendmsg(MSG_DEALLOC_VGPRS)
	s_endpgm
	.section	.rodata,"a",@progbits
	.p2align	6, 0x0
	.amdhsa_kernel fft_rtc_back_len3240_factors_3_3_10_6_6_wgs_108_tpt_108_halfLds_dp_op_CI_CI_unitstride_sbrr_C2R_dirReg
		.amdhsa_group_segment_fixed_size 0
		.amdhsa_private_segment_fixed_size 0
		.amdhsa_kernarg_size 104
		.amdhsa_user_sgpr_count 2
		.amdhsa_user_sgpr_dispatch_ptr 0
		.amdhsa_user_sgpr_queue_ptr 0
		.amdhsa_user_sgpr_kernarg_segment_ptr 1
		.amdhsa_user_sgpr_dispatch_id 0
		.amdhsa_user_sgpr_private_segment_size 0
		.amdhsa_wavefront_size32 1
		.amdhsa_uses_dynamic_stack 0
		.amdhsa_enable_private_segment 0
		.amdhsa_system_sgpr_workgroup_id_x 1
		.amdhsa_system_sgpr_workgroup_id_y 0
		.amdhsa_system_sgpr_workgroup_id_z 0
		.amdhsa_system_sgpr_workgroup_info 0
		.amdhsa_system_vgpr_workitem_id 0
		.amdhsa_next_free_vgpr 256
		.amdhsa_next_free_sgpr 39
		.amdhsa_reserve_vcc 1
		.amdhsa_float_round_mode_32 0
		.amdhsa_float_round_mode_16_64 0
		.amdhsa_float_denorm_mode_32 3
		.amdhsa_float_denorm_mode_16_64 3
		.amdhsa_fp16_overflow 0
		.amdhsa_workgroup_processor_mode 1
		.amdhsa_memory_ordered 1
		.amdhsa_forward_progress 0
		.amdhsa_round_robin_scheduling 0
		.amdhsa_exception_fp_ieee_invalid_op 0
		.amdhsa_exception_fp_denorm_src 0
		.amdhsa_exception_fp_ieee_div_zero 0
		.amdhsa_exception_fp_ieee_overflow 0
		.amdhsa_exception_fp_ieee_underflow 0
		.amdhsa_exception_fp_ieee_inexact 0
		.amdhsa_exception_int_div_zero 0
	.end_amdhsa_kernel
	.text
.Lfunc_end0:
	.size	fft_rtc_back_len3240_factors_3_3_10_6_6_wgs_108_tpt_108_halfLds_dp_op_CI_CI_unitstride_sbrr_C2R_dirReg, .Lfunc_end0-fft_rtc_back_len3240_factors_3_3_10_6_6_wgs_108_tpt_108_halfLds_dp_op_CI_CI_unitstride_sbrr_C2R_dirReg
                                        ; -- End function
	.section	.AMDGPU.csdata,"",@progbits
; Kernel info:
; codeLenInByte = 22712
; NumSgprs: 41
; NumVgprs: 256
; ScratchSize: 0
; MemoryBound: 0
; FloatMode: 240
; IeeeMode: 1
; LDSByteSize: 0 bytes/workgroup (compile time only)
; SGPRBlocks: 5
; VGPRBlocks: 31
; NumSGPRsForWavesPerEU: 41
; NumVGPRsForWavesPerEU: 256
; Occupancy: 5
; WaveLimiterHint : 1
; COMPUTE_PGM_RSRC2:SCRATCH_EN: 0
; COMPUTE_PGM_RSRC2:USER_SGPR: 2
; COMPUTE_PGM_RSRC2:TRAP_HANDLER: 0
; COMPUTE_PGM_RSRC2:TGID_X_EN: 1
; COMPUTE_PGM_RSRC2:TGID_Y_EN: 0
; COMPUTE_PGM_RSRC2:TGID_Z_EN: 0
; COMPUTE_PGM_RSRC2:TIDIG_COMP_CNT: 0
	.text
	.p2alignl 7, 3214868480
	.fill 96, 4, 3214868480
	.type	__hip_cuid_6e1e5845522de631,@object ; @__hip_cuid_6e1e5845522de631
	.section	.bss,"aw",@nobits
	.globl	__hip_cuid_6e1e5845522de631
__hip_cuid_6e1e5845522de631:
	.byte	0                               ; 0x0
	.size	__hip_cuid_6e1e5845522de631, 1

	.ident	"AMD clang version 19.0.0git (https://github.com/RadeonOpenCompute/llvm-project roc-6.4.0 25133 c7fe45cf4b819c5991fe208aaa96edf142730f1d)"
	.section	".note.GNU-stack","",@progbits
	.addrsig
	.addrsig_sym __hip_cuid_6e1e5845522de631
	.amdgpu_metadata
---
amdhsa.kernels:
  - .args:
      - .actual_access:  read_only
        .address_space:  global
        .offset:         0
        .size:           8
        .value_kind:     global_buffer
      - .offset:         8
        .size:           8
        .value_kind:     by_value
      - .actual_access:  read_only
        .address_space:  global
        .offset:         16
        .size:           8
        .value_kind:     global_buffer
      - .actual_access:  read_only
        .address_space:  global
        .offset:         24
        .size:           8
        .value_kind:     global_buffer
      - .actual_access:  read_only
        .address_space:  global
        .offset:         32
        .size:           8
        .value_kind:     global_buffer
      - .offset:         40
        .size:           8
        .value_kind:     by_value
      - .actual_access:  read_only
        .address_space:  global
        .offset:         48
        .size:           8
        .value_kind:     global_buffer
      - .actual_access:  read_only
        .address_space:  global
        .offset:         56
        .size:           8
        .value_kind:     global_buffer
      - .offset:         64
        .size:           4
        .value_kind:     by_value
      - .actual_access:  read_only
        .address_space:  global
        .offset:         72
        .size:           8
        .value_kind:     global_buffer
      - .actual_access:  read_only
        .address_space:  global
        .offset:         80
        .size:           8
        .value_kind:     global_buffer
      - .actual_access:  read_only
        .address_space:  global
        .offset:         88
        .size:           8
        .value_kind:     global_buffer
      - .actual_access:  write_only
        .address_space:  global
        .offset:         96
        .size:           8
        .value_kind:     global_buffer
    .group_segment_fixed_size: 0
    .kernarg_segment_align: 8
    .kernarg_segment_size: 104
    .language:       OpenCL C
    .language_version:
      - 2
      - 0
    .max_flat_workgroup_size: 108
    .name:           fft_rtc_back_len3240_factors_3_3_10_6_6_wgs_108_tpt_108_halfLds_dp_op_CI_CI_unitstride_sbrr_C2R_dirReg
    .private_segment_fixed_size: 0
    .sgpr_count:     41
    .sgpr_spill_count: 0
    .symbol:         fft_rtc_back_len3240_factors_3_3_10_6_6_wgs_108_tpt_108_halfLds_dp_op_CI_CI_unitstride_sbrr_C2R_dirReg.kd
    .uniform_work_group_size: 1
    .uses_dynamic_stack: false
    .vgpr_count:     256
    .vgpr_spill_count: 0
    .wavefront_size: 32
    .workgroup_processor_mode: 1
amdhsa.target:   amdgcn-amd-amdhsa--gfx1201
amdhsa.version:
  - 1
  - 2
...

	.end_amdgpu_metadata
